;; amdgpu-corpus repo=ROCm/Tensile kind=harvested arch=n/a opt=n/a

/******************************************/
/* Function Prefix                        */
/******************************************/



/******************************************/
/* Begin Kernel                           */
/******************************************/

// Component.Signature.SignatureDefault
.amdgcn_target "amdgcn-amd-amdhsa--gfx90a"
.text
.protected Cijk_Alik_Bjlk_I8II_BH_MT128x96x64_MI32x32x8x1_SE_1LDSB0_APM1_AF0EM8_AF1EM1_AMAS0_ASGT_ASLT_ASAE01_ASCE01_ASEM1_BL1_BS1_CLR0_DTLA0_DTLB0_DTVA0_DVO0_EPS0_FL0_GLVWA8_GLVWB8_GRVW8_GSU1_GSUASB_GLS0_ISA90a_IU1_K1_KLA_LBSPPA128_LBSPPB0_LPA16_LPB0_LDL1_LRVW16_LDW0_MAC_MIAV0_MMFGLC_NTA0_NTB0_NTC0_NTD0_NEPBS0_NLCA1_NLCB3_ONLL1_OPLV0_PK0_PAP0_PGR2_PLR9_SIA3_SS0_SU0_SUM0_SUS0_SCIUI1_SPO0_SRVW4_SSO0_SVW4_SNLL0_TT1_96_TLDS1_UMLDSA1_UMLDSB0_USFGROn1_VAW1_VSn1_VW1_VWB1_VFLRP0_WSGRA1_WSGRB1_WG128_2_1_WGM15
.globl Cijk_Alik_Bjlk_I8II_BH_MT128x96x64_MI32x32x8x1_SE_1LDSB0_APM1_AF0EM8_AF1EM1_AMAS0_ASGT_ASLT_ASAE01_ASCE01_ASEM1_BL1_BS1_CLR0_DTLA0_DTLB0_DTVA0_DVO0_EPS0_FL0_GLVWA8_GLVWB8_GRVW8_GSU1_GSUASB_GLS0_ISA90a_IU1_K1_KLA_LBSPPA128_LBSPPB0_LPA16_LPB0_LDL1_LRVW16_LDW0_MAC_MIAV0_MMFGLC_NTA0_NTB0_NTC0_NTD0_NEPBS0_NLCA1_NLCB3_ONLL1_OPLV0_PK0_PAP0_PGR2_PLR9_SIA3_SS0_SU0_SUM0_SUS0_SCIUI1_SPO0_SRVW4_SSO0_SVW4_SNLL0_TT1_96_TLDS1_UMLDSA1_UMLDSB0_USFGROn1_VAW1_VSn1_VW1_VWB1_VFLRP0_WSGRA1_WSGRB1_WG128_2_1_WGM15
.p2align 8
.type Cijk_Alik_Bjlk_I8II_BH_MT128x96x64_MI32x32x8x1_SE_1LDSB0_APM1_AF0EM8_AF1EM1_AMAS0_ASGT_ASLT_ASAE01_ASCE01_ASEM1_BL1_BS1_CLR0_DTLA0_DTLB0_DTVA0_DVO0_EPS0_FL0_GLVWA8_GLVWB8_GRVW8_GSU1_GSUASB_GLS0_ISA90a_IU1_K1_KLA_LBSPPA128_LBSPPB0_LPA16_LPB0_LDL1_LRVW16_LDW0_MAC_MIAV0_MMFGLC_NTA0_NTB0_NTC0_NTD0_NEPBS0_NLCA1_NLCB3_ONLL1_OPLV0_PK0_PAP0_PGR2_PLR9_SIA3_SS0_SU0_SUM0_SUS0_SCIUI1_SPO0_SRVW4_SSO0_SVW4_SNLL0_TT1_96_TLDS1_UMLDSA1_UMLDSB0_USFGROn1_VAW1_VSn1_VW1_VWB1_VFLRP0_WSGRA1_WSGRB1_WG128_2_1_WGM15,@function
.section .rodata,#alloc
.p2align 6
.amdhsa_kernel Cijk_Alik_Bjlk_I8II_BH_MT128x96x64_MI32x32x8x1_SE_1LDSB0_APM1_AF0EM8_AF1EM1_AMAS0_ASGT_ASLT_ASAE01_ASCE01_ASEM1_BL1_BS1_CLR0_DTLA0_DTLB0_DTVA0_DVO0_EPS0_FL0_GLVWA8_GLVWB8_GRVW8_GSU1_GSUASB_GLS0_ISA90a_IU1_K1_KLA_LBSPPA128_LBSPPB0_LPA16_LPB0_LDL1_LRVW16_LDW0_MAC_MIAV0_MMFGLC_NTA0_NTB0_NTC0_NTD0_NEPBS0_NLCA1_NLCB3_ONLL1_OPLV0_PK0_PAP0_PGR2_PLR9_SIA3_SS0_SU0_SUM0_SUS0_SCIUI1_SPO0_SRVW4_SSO0_SVW4_SNLL0_TT1_96_TLDS1_UMLDSA1_UMLDSB0_USFGROn1_VAW1_VSn1_VW1_VWB1_VFLRP0_WSGRA1_WSGRB1_WG128_2_1_WGM15
  .amdhsa_user_sgpr_kernarg_segment_ptr 1
  .amdhsa_user_sgpr_kernarg_preload_offset 0
  .amdhsa_user_sgpr_kernarg_preload_length 0
  .amdhsa_user_sgpr_count 2
  .amdhsa_accum_offset 208 // accvgpr offset
  .amdhsa_next_free_vgpr 256 // vgprs
  .amdhsa_next_free_sgpr 58 // sgprs
  .amdhsa_group_segment_fixed_size 31744 // lds bytes
  .amdhsa_private_segment_fixed_size 0
  .amdhsa_system_sgpr_workgroup_id_x 1
  .amdhsa_system_sgpr_workgroup_id_y 1
  .amdhsa_system_sgpr_workgroup_id_z 1
  .amdhsa_system_vgpr_workitem_id 0
  .amdhsa_float_denorm_mode_32 3
  .amdhsa_float_denorm_mode_16_64 3
.end_amdhsa_kernel
.text

/******************************************/
/* Optimizations and Config:              */
/******************************************/
/* ThreadTile= 16 x 3 */
/* SubGroup= 8 x 32 */
/* VectorWidthA=1 */
/* VectorWidthB=1 */
/* GlobalLoadVectorWidthA=8, GlobalLoadVectorWidthB=8 */
/* DirectToLdsA=False */
/* DirectToLdsB=False */
/* UseSgprForGRO=False */
.amdgpu_metadata
---
amdhsa.version:
  - 1
  - 1
amdhsa.target: amdgcn-amd-amdhsa--gfx90a
amdhsa.kernels:
  - .name: Cijk_Alik_Bjlk_I8II_BH_MT128x96x64_MI32x32x8x1_SE_1LDSB0_APM1_AF0EM8_AF1EM1_AMAS0_ASGT_ASLT_ASAE01_ASCE01_ASEM1_BL1_BS1_CLR0_DTLA0_DTLB0_DTVA0_DVO0_EPS0_FL0_GLVWA8_GLVWB8_GRVW8_GSU1_GSUASB_GLS0_ISA90a_IU1_K1_KLA_LBSPPA128_LBSPPB0_LPA16_LPB0_LDL1_LRVW16_LDW0_MAC_MIAV0_MMFGLC_NTA0_NTB0_NTC0_NTD0_NEPBS0_NLCA1_NLCB3_ONLL1_OPLV0_PK0_PAP0_PGR2_PLR9_SIA3_SS0_SU0_SUM0_SUS0_SCIUI1_SPO0_SRVW4_SSO0_SVW4_SNLL0_TT1_96_TLDS1_UMLDSA1_UMLDSB0_USFGROn1_VAW1_VSn1_VW1_VWB1_VFLRP0_WSGRA1_WSGRB1_WG128_2_1_WGM15
    .symbol: 'Cijk_Alik_Bjlk_I8II_BH_MT128x96x64_MI32x32x8x1_SE_1LDSB0_APM1_AF0EM8_AF1EM1_AMAS0_ASGT_ASLT_ASAE01_ASCE01_ASEM1_BL1_BS1_CLR0_DTLA0_DTLB0_DTVA0_DVO0_EPS0_FL0_GLVWA8_GLVWB8_GRVW8_GSU1_GSUASB_GLS0_ISA90a_IU1_K1_KLA_LBSPPA128_LBSPPB0_LPA16_LPB0_LDL1_LRVW16_LDW0_MAC_MIAV0_MMFGLC_NTA0_NTB0_NTC0_NTD0_NEPBS0_NLCA1_NLCB3_ONLL1_OPLV0_PK0_PAP0_PGR2_PLR9_SIA3_SS0_SU0_SUM0_SUS0_SCIUI1_SPO0_SRVW4_SSO0_SVW4_SNLL0_TT1_96_TLDS1_UMLDSA1_UMLDSB0_USFGROn1_VAW1_VSn1_VW1_VWB1_VFLRP0_WSGRA1_WSGRB1_WG128_2_1_WGM15.kd'
    .language:                   OpenCL C
    .language_version:
      - 2
      - 0
    .args:
      - .name:            Tensor2dSizeA
        .size:            8
        .offset:          0
        .value_kind:      by_value
        .value_type:      u64
      - .name:            Tensor2dSizeB
        .size:            8
        .offset:          8
        .value_kind:      by_value
        .value_type:      u64
      - .name:            AddressD
        .size:            8
        .offset:          16
        .value_kind:      by_value
        .value_type:      u64
      - .name:            AddressC
        .size:            8
        .offset:          24
        .value_kind:      by_value
        .value_type:      u64
      - .name:            AddressA
        .size:            8
        .offset:          32
        .value_kind:      by_value
        .value_type:      u64
      - .name:            AddressB
        .size:            8
        .offset:          40
        .value_kind:      by_value
        .value_type:      u64
      - .name:            Alpha
        .size:            4
        .offset:          48
        .value_kind:      by_value
        .value_type:      u32
      - .name:            Beta
        .size:            4
        .offset:          52
        .value_kind:      by_value
        .value_type:      u32
      - .name:            StridesD
        .size:            8
        .offset:          56
        .value_kind:      by_value
        .value_type:      u64
      - .name:            StridesC
        .size:            8
        .offset:          64
        .value_kind:      by_value
        .value_type:      u64
      - .name:            StridesA
        .size:            8
        .offset:          72
        .value_kind:      by_value
        .value_type:      u64
      - .name:            StridesB
        .size:            8
        .offset:          80
        .value_kind:      by_value
        .value_type:      u64
      - .name:            SizesFree
        .size:            12
        .offset:          88
        .value_kind:      by_value
        .value_type:      u96
      - .name:            SizesSum
        .size:            4
        .offset:          100
        .value_kind:      by_value
        .value_type:      u32
      - .name:            NumWorkGroups0
        .size:            4
        .offset:          104
        .value_kind:      by_value
        .value_type:      u32
      - .name:            NumWorkGroups1
        .size:            4
        .offset:          108
        .value_kind:      by_value
        .value_type:      u32
      - .name:            NumFullBlocks
        .size:            4
        .offset:          112
        .value_kind:      by_value
        .value_type:      u32
      - .name:            WgmRemainder1
        .size:            4
        .offset:          116
        .value_kind:      by_value
        .value_type:      u32
      - .name:            MagicNumberWgmRemainder1
        .size:            4
        .offset:          120
        .value_kind:      by_value
        .value_type:      u32
    .group_segment_fixed_size:   31744
    .kernarg_segment_align:      8
    .kernarg_segment_size:       128
    .max_flat_workgroup_size:    256
    .private_segment_fixed_size: 0
    .sgpr_count:                 58
    .sgpr_spill_count:           0
    .vgpr_count:                 208
    .vgpr_spill_count:           0
    .wavefront_size:             64
...
.end_amdgpu_metadata
Cijk_Alik_Bjlk_I8II_BH_MT128x96x64_MI32x32x8x1_SE_1LDSB0_APM1_AF0EM8_AF1EM1_AMAS0_ASGT_ASLT_ASAE01_ASCE01_ASEM1_BL1_BS1_CLR0_DTLA0_DTLB0_DTVA0_DVO0_EPS0_FL0_GLVWA8_GLVWB8_GRVW8_GSU1_GSUASB_GLS0_ISA90a_IU1_K1_KLA_LBSPPA128_LBSPPB0_LPA16_LPB0_LDL1_LRVW16_LDW0_MAC_MIAV0_MMFGLC_NTA0_NTB0_NTC0_NTD0_NEPBS0_NLCA1_NLCB3_ONLL1_OPLV0_PK0_PAP0_PGR2_PLR9_SIA3_SS0_SU0_SUM0_SUS0_SCIUI1_SPO0_SRVW4_SSO0_SVW4_SNLL0_TT1_96_TLDS1_UMLDSA1_UMLDSB0_USFGROn1_VAW1_VSn1_VW1_VWB1_VFLRP0_WSGRA1_WSGRB1_WG128_2_1_WGM15:

/******************************************/
/* Asm syntax workarounds                 */
/******************************************/
.macro _v_add_co_u32 dst:req, cc:req, src0:req, src1:req, dpp=
   v_add_co_u32 \dst, \cc, \src0, \src1 \dpp
.endm

.macro _v_add_u32 dst:req, src0:req, src1:req, dpp=
   v_add_u32 \dst, \src0, \src1 \dpp
.endm

.macro _v_add_i32 dst:req, src0:req, src1:req, dpp=
   v_add_i32 \dst, \src0, \src1 \dpp
.endm

.macro _v_addc_co_u32 dst:req, ccOut:req, src0:req, ccIn:req, src1:req, dpp=
   v_addc_co_u32 \dst, \ccOut, \src0, \ccIn, \src1 \dpp
.endm

.macro _v_sub_co_u32 dst:req, cc:req, src0:req, src1:req, dpp=
   v_sub_co_u32 \dst, \cc, \src0, \src1 \dpp
.endm

.macro _v_sub_u32 dst:req, src0:req, src1:req, dpp=
   v_sub_u32 \dst, \src0, \src1 \dpp
.endm

.macro _v_sub_i32 dst:req, src0:req, src1:req, dpp=
   v_sub_i32 \dst, \src0, \src1 \dpp
.endm

.macro _v_add_lshl_u32 dst:req, src0:req, src1:req, shiftCnt:req
    v_add_lshl_u32 \dst, \src0, \src1, \shiftCnt
.endm

.macro _v_lshl_add_u32 dst:req, src0:req, src1:req, shiftCnt:req
    v_lshl_add_u32 \dst, \src0, \src1, \shiftCnt
.endm

.macro _v_lshl_or_b32 dst:req, src0:req, shiftCnt:req, src1:req
    v_lshl_or_b32 \dst, \src0, \shiftCnt, \src1
.endm

.macro _v_dot2acc_f32_f16 dst, src0, src1
v_dot2c_f32_f16 \dst, \src0, \src1
.endm

.macro _v_cmpx_lt_i16 dst, src0, src1=
   v_cmpx_lt_i16 \dst, \src0, \src1 
.endm

.macro _v_cmpx_lt_i32 dst, src0, src1=
   v_cmpx_lt_i32 \dst, \src0, \src1 
.endm

.macro _v_cmpx_lt_i64 dst, src0, src1=
   v_cmpx_lt_i64 \dst, \src0, \src1 
.endm

.macro _v_cmpx_lt_u16 dst, src0, src1=
   v_cmpx_lt_u16 \dst, \src0, \src1 
.endm

.macro _v_cmpx_lt_u32 dst, src0, src1=
   v_cmpx_lt_u32 \dst, \src0, \src1 
.endm

.macro _v_cmpx_lt_u64 dst, src0, src1=
   v_cmpx_lt_u64 \dst, \src0, \src1 
.endm

.macro _v_cmpx_eq_i16 dst, src0, src1=
   v_cmpx_eq_i16 \dst, \src0, \src1 
.endm

.macro _v_cmpx_eq_i32 dst, src0, src1=
   v_cmpx_eq_i32 \dst, \src0, \src1 
.endm

.macro _v_cmpx_eq_i64 dst, src0, src1=
   v_cmpx_eq_i64 \dst, \src0, \src1 
.endm

.macro _v_cmpx_eq_u16 dst, src0, src1=
   v_cmpx_eq_u16 \dst, \src0, \src1 
.endm

.macro _v_cmpx_eq_u32 dst, src0, src1=
   v_cmpx_eq_u32 \dst, \src0, \src1 
.endm

.macro _v_cmpx_eq_u64 dst, src0, src1=
   v_cmpx_eq_u64 \dst, \src0, \src1 
.endm

.macro _v_cmpx_le_i16 dst, src0, src1=
   v_cmpx_le_i16 \dst, \src0, \src1 
.endm

.macro _v_cmpx_le_i32 dst, src0, src1=
   v_cmpx_le_i32 \dst, \src0, \src1 
.endm

.macro _v_cmpx_le_i64 dst, src0, src1=
   v_cmpx_le_i64 \dst, \src0, \src1 
.endm

.macro _v_cmpx_le_u16 dst, src0, src1=
   v_cmpx_le_u16 \dst, \src0, \src1 
.endm

.macro _v_cmpx_le_u32 dst, src0, src1=
   v_cmpx_le_u32 \dst, \src0, \src1 
.endm

.macro _v_cmpx_le_u64 dst, src0, src1=
   v_cmpx_le_u64 \dst, \src0, \src1 
.endm

.macro _v_cmpx_gt_i16 dst, src0, src1=
   v_cmpx_gt_i16 \dst, \src0, \src1 
.endm

.macro _v_cmpx_gt_i32 dst, src0, src1=
   v_cmpx_gt_i32 \dst, \src0, \src1 
.endm

.macro _v_cmpx_gt_i64 dst, src0, src1=
   v_cmpx_gt_i64 \dst, \src0, \src1 
.endm

.macro _v_cmpx_gt_u16 dst, src0, src1=
   v_cmpx_gt_u16 \dst, \src0, \src1 
.endm

.macro _v_cmpx_gt_u32 dst, src0, src1=
   v_cmpx_gt_u32 \dst, \src0, \src1 
.endm

.macro _v_cmpx_gt_u64 dst, src0, src1=
   v_cmpx_gt_u64 \dst, \src0, \src1 
.endm

.macro _v_cmpx_ne_i16 dst, src0, src1=
   v_cmpx_ne_i16 \dst, \src0, \src1 
.endm

.macro _v_cmpx_ne_i32 dst, src0, src1=
   v_cmpx_ne_i32 \dst, \src0, \src1 
.endm

.macro _v_cmpx_ne_i64 dst, src0, src1=
   v_cmpx_ne_i64 \dst, \src0, \src1 
.endm

.macro _v_cmpx_ne_u16 dst, src0, src1=
   v_cmpx_ne_u16 \dst, \src0, \src1 
.endm

.macro _v_cmpx_ne_u32 dst, src0, src1=
   v_cmpx_ne_u32 \dst, \src0, \src1 
.endm

.macro _v_cmpx_ne_u64 dst, src0, src1=
   v_cmpx_ne_u64 \dst, \src0, \src1 
.endm

.macro _v_cmpx_lg_i16 dst, src0, src1=
   v_cmpx_lg_i16 \dst, \src0, \src1 
.endm

.macro _v_cmpx_lg_i32 dst, src0, src1=
   v_cmpx_lg_i32 \dst, \src0, \src1 
.endm

.macro _v_cmpx_lg_i64 dst, src0, src1=
   v_cmpx_lg_i64 \dst, \src0, \src1 
.endm

.macro _v_cmpx_lg_u16 dst, src0, src1=
   v_cmpx_lg_u16 \dst, \src0, \src1 
.endm

.macro _v_cmpx_lg_u32 dst, src0, src1=
   v_cmpx_lg_u32 \dst, \src0, \src1 
.endm

.macro _v_cmpx_lg_u64 dst, src0, src1=
   v_cmpx_lg_u64 \dst, \src0, \src1 
.endm

.macro _v_cmpx_ge_i16 dst, src0, src1=
   v_cmpx_ge_i16 \dst, \src0, \src1 
.endm

.macro _v_cmpx_ge_i32 dst, src0, src1=
   v_cmpx_ge_i32 \dst, \src0, \src1 
.endm

.macro _v_cmpx_ge_i64 dst, src0, src1=
   v_cmpx_ge_i64 \dst, \src0, \src1 
.endm

.macro _v_cmpx_ge_u16 dst, src0, src1=
   v_cmpx_ge_u16 \dst, \src0, \src1 
.endm

.macro _v_cmpx_ge_u32 dst, src0, src1=
   v_cmpx_ge_u32 \dst, \src0, \src1 
.endm

.macro _v_cmpx_ge_u64 dst, src0, src1=
   v_cmpx_ge_u64 \dst, \src0, \src1 
.endm

.macro _v_cmpx_o_i16 dst, src0, src1=
   v_cmpx_o_i16 \dst, \src0, \src1 
.endm

.macro _v_cmpx_o_i32 dst, src0, src1=
   v_cmpx_o_i32 \dst, \src0, \src1 
.endm

.macro _v_cmpx_o_i64 dst, src0, src1=
   v_cmpx_o_i64 \dst, \src0, \src1 
.endm

.macro _v_cmpx_o_u16 dst, src0, src1=
   v_cmpx_o_u16 \dst, \src0, \src1 
.endm

.macro _v_cmpx_o_u32 dst, src0, src1=
   v_cmpx_o_u32 \dst, \src0, \src1 
.endm

.macro _v_cmpx_o_u64 dst, src0, src1=
   v_cmpx_o_u64 \dst, \src0, \src1 
.endm

.macro _v_cmpx_u_i16 dst, src0, src1=
   v_cmpx_u_i16 \dst, \src0, \src1 
.endm

.macro _v_cmpx_u_i32 dst, src0, src1=
   v_cmpx_u_i32 \dst, \src0, \src1 
.endm

.macro _v_cmpx_u_i64 dst, src0, src1=
   v_cmpx_u_i64 \dst, \src0, \src1 
.endm

.macro _v_cmpx_u_u16 dst, src0, src1=
   v_cmpx_u_u16 \dst, \src0, \src1 
.endm

.macro _v_cmpx_u_u32 dst, src0, src1=
   v_cmpx_u_u32 \dst, \src0, \src1 
.endm

.macro _v_cmpx_u_u64 dst, src0, src1=
   v_cmpx_u_u64 \dst, \src0, \src1 
.endm
.macro _v_mac_f32 c:req, a:req, b:req
    v_mac_f32 \c, \a, \b
.endmacro

/* scale global load macros */
.macro _s_load_b32 dst base offset
    s_load_dword \dst \base \offset
.endm

.macro _s_load_b64 dst base offset
    s_load_dwordx2 \dst \base \offset
.endm

.macro _s_load_b128 dst base offset
    s_load_dwordx4 \dst \base \offset
.endm

.macro _s_load_b256 dst base offset
    s_load_dwordx8 \dst \base \offset
.endm

.macro _s_load_b512 dst base offset
    s_load_dwordx16 \dst \base \offset
.endm


/* ds operation macros */
.macro _ds_load_u8 dst src offset
    ds_read_u8 \dst \src \offset
.endm

.macro _ds_load_u8_d16_hi dst src offset
    ds_read_u8_d16_hi \dst \src \offset
.endm

.macro _ds_load_u16 dst src offset
    ds_read_u16 \dst \src \offset
.endm

.macro _ds_load_u16_d16_hi dst src offset
    ds_read_u16_d16_hi \dst \src \offset
.endm

.macro _ds_load_b32 dst src offset
    ds_read_b32 \dst \src \offset
.endm

.macro _ds_load_b64 dst src offset
    ds_read_b64 \dst \src \offset
.endm

.macro _ds_load_b128 dst src offset
    ds_read_b128 \dst \src \offset
.endm

.macro _ds_store_b8 dst src offset
    ds_write_b8 \dst \src \offset
.endm

.macro _ds_store_b8_d16_hi dst src offset
    ds_write_b8_d16_hi \dst \src \offset
.endm

.macro _ds_store_b16 dst src offset
    ds_write_b16 \dst \src \offset
.endm

.macro _ds_store_b16_d16_hi dst src offset
    ds_write_b16_d16_hi \dst \src \offset
.endm

.macro _ds_store_b32 dst src offset
    ds_write_b32 \dst \src \offset
.endm

.macro _ds_store_b64 dst src offset
    ds_write_b64 \dst \src \offset
.endm

.macro _ds_store_b128 dst src offset
    ds_write_b128 \dst \src \offset
.endm

.macro _ds_load2_b32 dst src offset1 offset2
    ds_read2_b32 \dst \src \offset1 \offset2
.endm

.macro _ds_load2_b64 dst src offset1 offset2
    ds_read2_b64 \dst \src \offset1 \offset2
.endm

.macro _ds_store2_b32 dst src offset1 offset2
    ds_write2_b32 \dst \src \offset1 \offset2
.endm

.macro _ds_store2_b64 dst src offset1 offset2
    ds_write2_b64 \dst \src \offset1 \offset2
.endm


/* buffer memory operation macros */
.macro _buffer_load_b32 dst voffset base soffset offen ioffset md0 md1 md2
    buffer_load_dword \dst \voffset \base \soffset \offen \ioffset \md0 \md1 \md2
.endm

.macro _buffer_load_b64 dst voffset base soffset offen ioffset md0 md1 md2
    buffer_load_dwordx2 \dst \voffset \base \soffset \offen \ioffset \md0 \md1 \md2
.endm

.macro _buffer_load_b96 dst voffset base soffset offen ioffset md0 md1 md2
    buffer_load_dwordx3 \dst \voffset \base \soffset \offen \ioffset \md0 \md1 \md2
.endm

.macro _buffer_load_b128 dst voffset base soffset offen ioffset md0 md1 md2
    buffer_load_dwordx4 \dst \voffset \base \soffset \offen \ioffset \md0 \md1 \md2
.endm

.macro _buffer_load_d16_b16 dst voffset base soffset offen ioffset md0 md1 md2
    buffer_load_short_d16 \dst \voffset \base \soffset \offen \ioffset \md0 \md1 \md2
.endm

.macro _buffer_load_d16_hi_b16 dst voffset base soffset offen ioffset md0 md1 md2
    buffer_load_short_d16_hi \dst \voffset \base \soffset \offen \ioffset \md0 \md1 \md2
.endm

.macro _buffer_load_d16_u8 dst voffset base soffset offen ioffset md0 md1 md2
    buffer_load_ubyte_d16 \dst \voffset \base \soffset \offen \ioffset \md0 \md1 \md2
.endm

.macro _buffer_load_d16_hi_u8 dst voffset base soffset offen ioffset md0 md1 md2
    buffer_load_ubyte_d16_hi \dst \voffset \base \soffset \offen \ioffset \md0 \md1 \md2
.endm

.macro _buffer_load_u16 dst voffset base soffset offen ioffset md0 md1 md2
    buffer_load_ushort \dst \voffset \base \soffset \offen \ioffset \md0 \md1 \md2
.endm

.macro _buffer_load_b32_dtl voffset base soffset offen ioffset md0 md1 md2
    buffer_load_dword \voffset \base \soffset \offen \ioffset \md0 \md1 \md2
.endm

.macro _buffer_load_b64_dtl voffset base soffset offen ioffset md0 md1 md2
    buffer_load_dwordx2 \voffset \base \soffset \offen \ioffset \md0 \md1 \md2
.endm

.macro _buffer_load_b128_dtl voffset base soffset offen ioffset md0 md1 md2
    buffer_load_dwordx4 \voffset \base \soffset \offen \ioffset \md0 \md1 \md2
.endm

.macro _buffer_load_u16_dtl voffset base soffset offen ioffset md0 md1 md2
    buffer_load_ushort \voffset \base \soffset \offen \ioffset \md0 \md1 \md2
.endm

.macro _buffer_store_b32 src voffset base soffset offen ioffset md0 md1 md2
    buffer_store_dword \src \voffset \base \soffset \offen \ioffset \md0 \md1 \md2
.endm

.macro _buffer_store_b64 src voffset base soffset offen ioffset md0 md1 md2
    buffer_store_dwordx2 \src \voffset \base \soffset \offen \ioffset \md0 \md1 \md2
.endm

.macro _buffer_store_b96 src voffset base soffset offen ioffset md0 md1 md2
    buffer_store_dwordx3 \src \voffset \base \soffset \offen \ioffset \md0 \md1 \md2
.endm

.macro _buffer_store_b128 src voffset base soffset offen ioffset md0 md1 md2
    buffer_store_dwordx4 \src \voffset \base \soffset \offen \ioffset \md0 \md1 \md2
.endm

.macro _buffer_store_b16 src voffset base soffset offen ioffset md0 md1 md2
    buffer_store_short \src \voffset \base \soffset \offen \ioffset \md0 \md1 \md2
.endm

.macro _buffer_store_d16_hi_b16 src voffset base soffset offen ioffset md0 md1 md2
    buffer_store_short_d16_hi \src \voffset \base \soffset \offen \ioffset \md0 \md1 \md2
.endm

.macro _buffer_store_b8 src voffset base soffset offen ioffset md0 md1 md2
    buffer_store_byte \src \voffset \base \soffset \offen \ioffset \md0 \md1 \md2
.endm

.macro _buffer_store_d16_hi_b8 src voffset base soffset offen ioffset md0 md1 md2
    buffer_store_byte_d16_hi \src \voffset \base \soffset \offen \ioffset \md0 \md1 \md2
.endm

.macro _buffer_atomic_cmpswap_b32 dst voffset base soffset offen ioffset md0 md1 md2
    buffer_atomic_cmpswap \dst \voffset \base \soffset \offen \ioffset \md0 \md1 \md2
.endm

.macro _buffer_atomic_cmpswap_b64 dst voffset base soffset offen ioffset md0 md1 md2
    buffer_atomic_cmpswap_x2 \dst \voffset \base \soffset \offen \ioffset \md0 \md1 \md2
.endm


/* buffer memory operation macros */
.macro _global_load_b32 dst base src ioffset md0 md1 md2
    global_load_dword \dst \base \src \ioffset \md0 \md1 \md2
.endm

.macro _global_load_b64 dst base src ioffset md0 md1 md2
    global_load_dwordx2 \dst \base \src \ioffset \md0 \md1 \md2
.endm

.macro _global_load_b96 dst base src ioffset md0 md1 md2
    global_load_dwordx3 \dst \base \src \ioffset \md0 \md1 \md2
.endm

.macro _global_load_b128 dst base src ioffset md0 md1 md2
    global_load_dwordx4 \dst \base \src \ioffset \md0 \md1 \md2
.endm

.macro _global_load_d16_b16 dst base src ioffset md0 md1 md2
    global_load_short_d16 \dst \base \src \ioffset \md0 \md1 \md2
.endm

.macro _global_load_d16_hi_b16 dst base src ioffset md0 md1 md2
    global_load_short_d16_hi \dst \base \src \ioffset \md0 \md1 \md2
.endm

.macro _global_load_d16_u8 dst base src ioffset md0 md1 md2
    global_load_ubyte_d16 \dst \base \src \ioffset \md0 \md1 \md2
.endm

.macro _global_load_d16_hi_u8 dst base src ioffset md0 md1 md2
    global_load_ubyte_d16_hi \dst \base \src \ioffset \md0 \md1 \md2
.endm

.macro _global_load_u16 dst base src ioffset md0 md1 md2
    global_load_ushort \dst \base \src \ioffset \md0 \md1 \md2
.endm

.macro _global_store_b32 base src src2 md0 md1 md2
    global_store_dword \base \src \src2 \md0 \md1 \md2
.endm

.macro _global_store_b64 base src src2 md0 md1 md2
    global_store_dwordx2 \base \src \src2 \md0 \md1 \md2
.endm

.macro _global_store_b96 base src src2 md0 md1 md2
    global_store_dwordx3 \base \src \src2 \md0 \md1 \md2
.endm

.macro _global_store_b128 base src src2 md0 md1 md2
    global_store_dwordx4 \base \src \src2 \md0 \md1 \md2
.endm

.macro _global_store_d16_b16 base src src2 md0 md1 md2
    global_store_short \base \src \src2 \md0 \md1 \md2
.endm

.macro _global_store_d16_hi_b16 base src src2 md0 md1 md2
    global_store_short_d16_hi \base \src \src2 \md0 \md1 \md2
.endm

.macro _global_store_d16_u8 base src src2 md0 md1 md2
    global_store_ubyte_d16 \base \src \src2 \md0 \md1 \md2
.endm

.macro _global_store_d16_hi_u8 base src src2 md0 md1 md2
    global_store_ubyte_d16_hi \base \src \src2 \md0 \md1 \md2
.endm

.macro _global_store_u16 base src src2 md0 md1 md2
    global_store_ushort \base \src \src2 \md0 \md1 \md2
.endm

.macro _global_atomic_cmpswap_b32 tmp base data src ioffset md
    global_atomic_cmpswap \tmp \base \data \src \ioffset \md
.endm

.macro _global_atomic_cmpswap_b64 tmp base data src ioffset md
    global_atomic_cmpswap_x2 \tmp \base \data \src \ioffset \md
.endm


/******************************************/
/* Magic div and mod functions            */
/******************************************/
.macro V_MAGIC_DIV dstIdx:req, dividend:req, magicNumber:req, magicShift:req, magicA:req
    v_mul_hi_u32 v[\dstIdx+1], \dividend, \magicNumber
    v_mul_lo_u32 v[\dstIdx+0], \dividend, \magicA
    _v_add_u32 v[\dstIdx+0], v[\dstIdx+0], v[\dstIdx+1]
    v_lshrrev_b32 v[\dstIdx+0], \magicShift, v[\dstIdx+0]
.endm

/******************************************/
/* VGPR Assignments                       */
/******************************************/
/* ValuC range: [0-0), serializedStore enabled */
.set vgprValuC, 0
/* ValuA/B   Xn=PLR buffer idx,  In=InnerUnroll idx */
.set vgprValuA_X0_I0, 0
.set vgprValuA_X1_I0, 1
.set vgprValuA_X2_I0, 2
.set vgprValuA_X3_I0, 3
.set vgprValuA_X4_I0, 4
.set vgprValuA_X5_I0, 5
.set vgprValuA_X6_I0, 6
.set vgprValuA_X7_I0, 7
.set vgprG2LA, 42
.set vgprValuB_X0_I0, 8
.set vgprValuB_X1_I0, 11
.set vgprValuB_X2_I0, 14
.set vgprValuB_X3_I0, 17
.set vgprValuB_X4_I0, 20
.set vgprValuB_X5_I0, 23
.set vgprValuB_X6_I0, 26
.set vgprValuB_X7_I0, 29
.set vgprG2LB, 50
.set vgprLocalWriteAddrA, 32
.set vgprLocalWriteAddrB, 33
.set vgprGlobalReadOffsetA, 34
.set vgprGlobalReadOffsetB, 38
.set vgprLocalReadAddrA, 56
.set vgprLocalReadAddrB, 57
.set vgprSerial, 58
/* Num VGPR=208 */
/* Num AccVGPR=48 */

/******************************************/
/* SGPR Assignments                       */
/******************************************/
.set sgprKernArgAddress, 0 // (2)
.set sgprWorkGroup0, 2 // (1)
.set sgprWorkGroup1, 3 // (1)
.set sgprWorkGroup2, 4 // (1)
.set sgprLoopCounterL, 5 // (1)
.set sgprOrigLoopCounter, 6 // (1)
.set sgprSrdA, 8 // (4)
.set sgprSrdB, 12 // (4)
.set sgprSrdD, 16 // (4)
.set sgprSrdC, 20 // (4)
.set sgprTensor2dSizeA, 24 // (2)
.set sgprTensor2dSizeB, 26 // (2)
.set sgprAddressD, 28 // (2)
.set sgprAddressC, 30 // (2)
.set sgprAddressA, 32 // (2)
.set sgprAddressB, 34 // (2)
.set sgprAlpha, 36 // (1)
.set sgprBeta, 37 // (1)
.set sgprStridesD, 38 // (2)
.set sgprStridesC, 40 // (2)
.set sgprStridesA, 42 // (2)
.set sgprStridesB, 44 // (2)
.set sgprSizesFree, 46 // (3)
.set sgprSizesSum, 49 // (1)
.set sgprNumWorkGroups0, 50 // (1)
.set sgprNumWorkGroups1, 51 // (1)
.set sgprNumFullBlocks, 52 // (1)
.set sgprWgmRemainder1, 53 // (1)
.set sgprMagicNumberWgmRemainder1, 54 // (1)
.set sgprShadowLimitA, 0 // (2)
.set sgprShadowLimitB, 28 // (2)
.set sgprGlobalReadIncsA, 7 // (1)
.set sgprGlobalReadIncsB, 30 // (1)
/* max SGPR=58 */

/* Size Assignments */
.set sgprSizeI, sgprSizesFree+0
.set sgprSizeJ, sgprSizesFree+1
.set sgprSizeK, sgprSizesFree+2
.set sgprSizeL, sgprSizesSum+0

/* Stride Assignments */
.set constStrideD0I, 1
.set sgprStrideD1J, sgprStridesD+0
.set sgprStrideDK, sgprStridesD+1
.set constStrideC0I, 1
.set sgprStrideC1J, sgprStridesC+0
.set sgprStrideCK, sgprStridesC+1
.set constStrideAL, 1
.set sgprStrideA0I, sgprStridesA+0
.set sgprStrideAK, sgprStridesA+1
.set constStrideB1J, 1
.set sgprStrideBL, sgprStridesB+0
.set sgprStrideBK, sgprStridesB+1

.set MT0, 128
.set MT1, 96
.set DepthU, 64
.set GSU, 1
.set BpeA, 1
.set BpeALog2, 0
.set BpeB, 1
.set BpeBLog2, 0
/* Number of elements to shift-left SRD */
.set SrdShiftLeftA, 8
.set SrdShiftLeftB, 8
/* 2GB limit - set offsets to -1 to exceed this and clamp */
.set BufferLimitA, 0xffffffff
.set BufferLimitB, 0xffffffff
.set BufferOOB, 0xfffff000

/******************************************/
/* Bits 127:96 of SRD.                    */
/* hex: 0x00020000                        */
/* dst_sel_x (3b): 0                      */
/* dst_sel_y (3b): 0                      */
/* dst_sel_z (3b): 0                      */
/* dst_sel_w (3b): 0                      */
/* num_format (3b): 0                     */
/* data_format (4b): 4                    */
/* user_vm_enable (1b): 0                 */
/* user_vm_mode (1b): 0                   */
/* index_stride (2b): 0                   */
/* add_tid_enable (1b): 0                 */
/* _unusedA (3b): 0                       */
/* nv (1b): 0                             */
/* _unusedB (2b): 0                       */
/* type (2b): 0                           */
/******************************************/
.set Srd127_96, 0x00020000

/* Global Offset A */
.macro GLOBAL_OFFSET_A vgprAddr:req vgprOffsetL:req vgprOffset0I:req vgprTmp:req
v_mul_lo_u32 v[\vgprTmp+0], s[sgprStrideA0I], v[\vgprOffset0I] // mul d1 lower
_v_add_co_u32 v[\vgprAddr+0], vcc, v[\vgprOffsetL], v[\vgprTmp+0] // accumulate K lower
_v_add_u32 v[\vgprAddr+0], 0x8, v[\vgprAddr+0]     // add prepad for pointer shift
                                                   // offset *= bytes/element (multiplier is 1, do nothing)
.endm

/* Global Offset B */
.macro GLOBAL_OFFSET_B vgprAddr:req vgprOffset1J:req vgprOffsetL:req vgprTmp:req
v_mul_lo_u32 v[\vgprTmp+0], s[sgprStrideBL], v[\vgprOffsetL] // mul d1 lower
_v_add_co_u32 v[\vgprAddr+0], vcc, v[\vgprOffset1J], v[\vgprTmp+0] // accumulate K lower
_v_add_u32 v[\vgprAddr+0], 0x8, v[\vgprAddr+0]     // add prepad for pointer shift
                                                   // offset *= bytes/element (multiplier is 1, do nothing)
.endm

/******************************************/
/* Dynamic Scalar Divide: vQuotient=vDividend/vDivisor; vRemainder=vDividend%vDivisor; */
/******************************************/
.macro DYNAMIC_VECTOR_DIVIDE vQuotient vRemainder vDividend vDivisor vTmp0 vTmp1 sTmp
v_cvt_f32_u32 v[\vQuotient], v[\vDivisor]          // 
v_rcp_f32 v[\vQuotient], v[\vQuotient]             // 
v_mul_f32 v[\vQuotient], 0x4f800000, v[\vQuotient] // 
v_cvt_u32_f32 v[\vQuotient], v[\vQuotient]         // 
v_mul_lo_u32 v[\vRemainder], v[\vDivisor], v[\vQuotient] // 
v_mul_hi_u32 v[\vTmp0], v[\vDivisor], v[\vQuotient] // 
_v_sub_co_u32 v[\vTmp1], vcc, 0x0, v[\vRemainder]  // 
v_cmp_ne_i32 s[\sTmp:\sTmp+1], 0x0, v[\vTmp0]      // 
v_cndmask_b32 v[\vRemainder], v[\vTmp1], v[\vRemainder], s[\sTmp:\sTmp+1] // 
v_mul_hi_u32 v[\vRemainder], v[\vRemainder], v[\vQuotient] // 
_v_sub_co_u32 v[\vTmp0], vcc, v[\vQuotient], v[\vRemainder] // 
_v_add_co_u32 v[\vQuotient], vcc, v[\vQuotient], v[\vRemainder] // 
v_cndmask_b32 v[\vQuotient], v[\vQuotient], v[\vTmp0], s[\sTmp:\sTmp+1] // 
v_mul_hi_u32 v[\vQuotient], v[\vQuotient], v[\vDividend] // 
v_mul_lo_u32 v[\vRemainder], v[\vQuotient], v[\vDivisor] // 
_v_sub_co_u32 v[\vTmp0], vcc, v[\vDividend], v[\vRemainder] // 
v_cmp_ge_u32 s[\sTmp:\sTmp+1], v[\vDividend], v[\vRemainder] // 
_v_add_co_u32 v[\vRemainder], vcc, 0x1, v[\vQuotient] // 
_v_add_co_u32 v[\vTmp1], vcc, -1, v[\vQuotient]    // 
v_cmp_le_u32 vcc, v[\vDivisor], v[\vTmp0]          // 
s_and_b64 vcc, s[\sTmp:\sTmp+1], vcc               // 
v_cndmask_b32 v[\vQuotient], v[\vQuotient], v[\vRemainder], vcc // 
v_cndmask_b32 v[\vQuotient], v[\vTmp1], v[\vQuotient], s[\sTmp:\sTmp+1] // 
v_cmp_ne_i32 vcc, 0x0, v[\vDivisor]                // 
v_cndmask_b32 v[\vQuotient], -1, v[\vQuotient], vcc // final result
v_mul_lo_u32 v[\vRemainder], v[\vQuotient], v[\vDivisor] // 
_v_sub_co_u32 v[\vRemainder], vcc, v[\vDividend], v[\vRemainder] // final result
.endm


	;; [unrolled: 1-line block ×3, first 2 shown]
/******************************************/
/* Allocate Resources                     */
/******************************************/

Cijk_Alik_Bjlk_I8II_BH_MT128x96x64_MI32x32x8x1_SE_1LDSB0_APM1_AF0EM8_AF1EM1_AMAS0_ASGT_ASLT_ASAE01_ASCE01_ASEM1_BL1_BS1_CLR0_DTLA0_DTLB0_DTVA0_DVO0_EPS0_FL0_GLVWA8_GLVWB8_GRVW8_GSU1_GSUASB_GLS0_ISA90a_IU1_K1_KLA_LBSPPA128_LBSPPB0_LPA16_LPB0_LDL1_LRVW16_LDW0_MAC_MIAV0_MMFGLC_NTA0_NTB0_NTC0_NTD0_NEPBS0_NLCA1_NLCB3_ONLL1_OPLV0_PK0_PAP0_PGR2_PLR9_SIA3_SS0_SU0_SUM0_SUS0_SCIUI1_SPO0_SRVW4_SSO0_SVW4_SNLL0_TT1_96_TLDS1_UMLDSA1_UMLDSB0_USFGROn1_VAW1_VSn1_VW1_VWB1_VFLRP0_WSGRA1_WSGRB1_WG128_2_1_WGM15_preloaded: // Kernel start when preloading

/* Load Kernel Args */
_s_load_b512 s[24:39], s[sgprKernArgAddress:sgprKernArgAddress+1], 0x0 // 
_s_load_b256 s[40:47], s[sgprKernArgAddress:sgprKernArgAddress+1], 0x40 // 
_s_load_b128 s[48:51], s[sgprKernArgAddress:sgprKernArgAddress+1], 0x60 // 
_s_load_b64 s[52:53], s[sgprKernArgAddress:sgprKernArgAddress+1], 0x70 // 
_s_load_b32 s54, s[sgprKernArgAddress:sgprKernArgAddress+1], 0x78 // 
s_mov_b32 m0, 0x7c00                               // LDS clamp at 31744 bytes
v_mov_b32 v[vgprSerial], v0                        // thread serial id

/******************************************/
/* Local Read Addresses                   */
/******************************************/


/* local read addresses: tile assignments a/b */

/*lr0I*/
v_and_b32 v1, 63, v[vgprSerial]                    // 0. thread id in wave: wtid = tid % wavelength(64)
v_and_b32 v0, 31, v1                               // 1. N offset: nIdx = wtid % MI_N(32)
v_lshlrev_b32 v0, 0x6, v0                          // 1. N offset: nOffset = nIdx * nStride(64)
                                                   // 2. block offset: bnIdx = bnIdx % num1DBlocks(1) is 0. do nothing
                                                   // 4. apply VectorWidth: bnOffset = bnOffset * vw(1) (multiplier is 1, do nothing)
v_lshrrev_b32 v1, 5, v1                            // 5. K offset: kIdx = wtid / (MIN(32) * MIBB(1))
v_lshlrev_b32 v1, 0x4, v1                          // 5. K offset: lrKOffset = kIdx * mStride(16)
_v_add_u32 v0, v1, v0                              // 6. offset in wave: lrOffset = bnOffset + lrKOffset
v_lshrrev_b32 v2, 6, v[vgprSerial]                 // 7. wave offset in N dimen: wtid = tid / dividedForWaveId(64)
v_and_b32 v1, 3, v2                                // 7. wave offset in M dimen: wtid0 = wtid / num1DWaves(4)
v_lshlrev_b32 v1, 0xb, v1                          // 7. wave offset in M dimen: wOffset = wtid0 * W0Stride(2048)
_v_add_u32 v0, v1, v0                              // 8. final local read offset: flrOffset = lrOffset + WOffset
/*lr1J*/
v_and_b32 v2, 63, v[vgprSerial]                    // 0. thread id in wave: wtid = tid % wavelength(64)
v_and_b32 v1, 31, v2                               // 1. N offset: nIdx = wtid % MI_N(32)
                                                   // 1. N offset: nOffset = nIdx * nStride(1) (multiplier is 1, do nothing)
                                                   // 2. block offset: bnIdx = bnIdx % num1DBlocks(1) is 0. do nothing
                                                   // 4. apply VectorWidth: bnOffset = bnOffset * vw(1) (multiplier is 1, do nothing)
v_lshrrev_b32 v2, 5, v2                            // 5. K offset: kIdx = wtid / (MIN(32) * MIBB(1))
s_mov_b32 s7, 0x600                                // 5. K offset: lrKOffset = kIdx * mStride(1536)
v_mul_lo_u32 v2, s7, v2                            // 5. K offset: lrKOffset = kIdx * mStride(1536)
_v_add_u32 v1, v2, v1                              // 6. offset in wave: lrOffset = bnOffset + lrKOffset


/* local read addresses: final offsets a */

v_lshlrev_b32 v[vgprLocalReadAddrA], 0x0, v0       // Final Offset: offset = (lro0)*bpe
v_lshrrev_b32 v0, 7, v[vgprLocalReadAddrA]         // Final Offset: padding 16 per block 128
v_lshlrev_b32 v0, 0x4, v0                          // Final Offset: padding 16 per block 128
_v_add_u32 v[vgprLocalReadAddrA], v0, v[vgprLocalReadAddrA] // Final Offset: add padding 16 per block 128


/* local read addresses: final offsets b */

v_lshlrev_b32 v[vgprLocalReadAddrB], 0x0, v1       // Final Offset: offset = (lro1)*bpe


/* local read addresses: declare addresses a */

/* N/A */


/* local read addresses: declare addresses b */

_v_add_co_u32 v[vgprLocalReadAddrB+0], vcc, 0x2400, v[vgprLocalReadAddrB+0] //  += LdsOffsetB (lower)


/* global read addresses: tile offset assignment a */

/* LVCA = 8 */
/* v0 = (local)groA-tile = serial/LVCA (note (wgA*MTA) will be added to SRD) */
/* v1 = groA-unroll = serial%LVCA */
v_and_b32 v2, 63, v[vgprSerial]                    // v2 = v[vgprSerial] % 64
v_lshrrev_b32 v0, 3, v2                            // v0 = v2 / 8
v_and_b32 v1, 7, v2                                // v1 = v2 % 8
v_readfirstlane_b32 s56, v[vgprSerial]             // WaveIdxWavefrontWidth
s_lshr_b32 s56, s56, 0x6                           // WaveId
s_mul_i32 s56, s56, 32                             // Global Read Wave: each wave loads continuous lsp(8)*nrp(4) columns
_v_add_u32 v0, s56, v0                             // Global Read Wave: add back to column index
/* gro-unroll *= glvw */
v_lshlrev_b32 v1, 0x3, v1                          // v1 = v1 * 8


/* global read addresses: tile offset assignment b */

/* LVCB = 4 */
/* v2 = (local)groB-tile = serial%LVCB (note (wgB*MTB) will be added to SRD) */
/* v3 = groB-unroll = serial/LVCB */
v_and_b32 v4, 63, v[vgprSerial]                    // v4 = v[vgprSerial] % 64
v_lshrrev_b32 v3, 2, v4                            // v3 = v4 / 4
v_and_b32 v2, 3, v4                                // v2 = v4 % 4
v_readfirstlane_b32 s56, v[vgprSerial]             // WaveIdxWavefrontWidth
s_lshr_b32 s56, s56, 0x6                           // WaveId
s_mul_i32 s56, s56, 16                             // Global Read Wave: each wave loads continuous lsp(16)*nrp(1) columns
_v_add_u32 v3, s56, v3                             // Global Read Wave: add back to column index
/* gro-tile *= glvw */
v_lshlrev_b32 v2, 0x3, v2                          // v2 = v2 * 8


/******************************************/
/* Local Write Addresses                  */
/******************************************/

/* lwaTileAssignmentA = v0 */

/* lwaTileAssignmentB = v2 */

/* lwaUnrollAssignmentA = v1 */

/* lwaUnrollAssignmentB = v3 */


/* local write addresses: first offset a */

v_mul_u32_u24 v[vgprLocalWriteAddrA], 0x40, v0     // lwAL**(DepthU_Compute + PAD)
_v_add_lshl_u32 v[vgprLocalWriteAddrA], v1, v[vgprLocalWriteAddrA], 0x0 // lwFOA = (lwAA + lwAL*(DepthU+PAD))*bpe
v_lshrrev_b32 v4, 7, v[vgprLocalWriteAddrA]        // padding 16 per block 128
v_lshlrev_b32 v4, 0x4, v4                          // padding 16 per block 128
_v_add_u32 v[vgprLocalWriteAddrA], v4, v[vgprLocalWriteAddrA] // add padding 16 per block 128


/* local write addresses: first offset b */

v_mul_u32_u24 v[vgprLocalWriteAddrB], 0x60, v3     // lwBL**(MTB + PAD)
_v_add_lshl_u32 v[vgprLocalWriteAddrB], v2, v[vgprLocalWriteAddrB], 0x0 // lwFOB = (lwBB + lwBL*(MT1J+PAD))*bpe
_v_add_co_u32 v[vgprLocalWriteAddrB], vcc, 0x2400, v[vgprLocalWriteAddrB] // lwFOB = lwB1J + lwBL*MT1J + LDS_OFFSET_B=9216*1


	;; [unrolled: 1-line block ×7, first 2 shown]
s_waitcnt lgkmcnt(0)                               // wait for 124 bytes of kern args
s_mov_b64 s[sgprSrdC+0:sgprSrdC+0+1], s[sgprAddressC+0:sgprAddressC+0+1] // copy addressC
s_mov_b64 s[sgprSrdD+0:sgprSrdD+0+1], s[sgprAddressD+0:sgprAddressD+0+1] // copy addressD
s_sub_u32 s[sgprSrdA+0], s[sgprAddressA+0], 8      // pre-pad to make room for possible pointer shift
s_subb_u32 s[sgprSrdA+1], s[sgprAddressA+1], 0     // pre-pad to make room for possible pointer shift
s_sub_u32 s[sgprSrdB+0], s[sgprAddressB+0], 8      // pre-pad to make room for possible pointer shift
s_subb_u32 s[sgprSrdB+1], s[sgprAddressB+1], 0     // pre-pad to make room for possible pointer shift

.set AddressD, UNDEF
.set AddressC, UNDEF
.set AddressA, UNDEF
.set AddressB, UNDEF

/* Short circuit condition if Alpha == 0, then sumDims=0 */
s_cmp_eq_u32 s[sgprAlpha], 0                       // Alpha == 0 ?
s_cmov_b32 s[sgprSizesSum+0], 0x0                  // Set summation dim=0 if Alpha == 0


	;; [unrolled: 1-line block ×3, first 2 shown]
/******************************************/
/* Begin setupNewTile, isPap=False           */
/******************************************/


/* global read addresses: work-group */

/* graWorkGroup mapping */
s_mov_b32 s35, 0x8888889L                          // magic number for WGM==15
s_mul_hi_u32 s33, s[sgprWorkGroup1], s35           // s_magic mul
s_mul_i32 s32, s[sgprWorkGroup1], s35              // s_magic mul
s_lshr_b64 s[32:33], s[32:33], 31                  // sMagicDiv
s_mul_i32 s33, s32, 15                             // quotient * non-magic divisor
s_sub_u32 s33, s[sgprWorkGroup1], s33              // WorkGroup1=remainder
s_mul_i32 s33, s33, s[sgprNumWorkGroups0]          // (wg1 % WGM)*nwg0
s_add_u32 s33, s33, s[sgprWorkGroup0]              // wgSerial = wg0 + (wg1 % WGM)*nwg1
s_cmp_ge_u32 s32, s[sgprNumFullBlocks]             // blockId >= numFullBlocks ?
s_cmov_b32 s35, s[sgprMagicNumberWgmRemainder1]    // 
s_cselect_b32 s34, s[sgprWgmRemainder1], 15        // 
s_mul_hi_u32 s3, s33, s35                          // s_magic mul
s_mul_i32 s2, s33, s35                             // s_magic mul
s_lshr_b64 s[2:3], s[2:3], 31                      // sMagicDiv
s_mul_i32 s[sgprWorkGroup1], s[sgprWorkGroup0], s34 // quotient * non-magic divisor
s_sub_u32 s[sgprWorkGroup1], s33, s[sgprWorkGroup1] // WorkGroup1=remainder
s_mul_i32 s32, s32, 15                             // blockId * WGM
s_add_u32 s[sgprWorkGroup1], s[sgprWorkGroup1], s32 // wg1 += blockId * WGM


/* global read addresses: unroll assignment a */

/* v1 */


/* global read addresses: unroll assignment b */

/* v3 */


/* global read addresses: other free assignments */

/* s[sgprWorkGroup2] */


/* global read addresses: tile offsets a */

v_mov_b32 v4, v0                                   // groA0I_0
_v_add_co_u32 v5, vcc, 8, v4                       // groA0I_1 += LSPA
_v_add_co_u32 v6, vcc, 8, v5                       // groA0I_2 += LSPA
_v_add_co_u32 v7, vcc, 8, v6                       // groA0I_3 += LSPA


/* global read addresses: tile offsets b */

v_mov_b32 v8, v2                                   // groB1J_0
_v_add_co_u32 v9, vcc, 32, v8                      // groB1J_1 += LSCB
_v_add_co_u32 v10, vcc, 32, v9                     // groB1J_2 += LSCB


/* global read addresses: unroll offsets a */

v_mov_b32 v11, v1                                  // groAL_0


/* global read addresses: unroll offsets b */

v_mov_b32 v12, v3                                  // groBL_0


/* global read addresses: shift b */

s_mul_i32 s31, s[sgprWorkGroup1], 96               // WorkGroup[01] * MT
s_sub_u32 s31, s[sgprSizeJ], s31                   // edge = Size1J - WG*MT
s_sub_u32 s31, s31, 8                              // edge -= margin(8)
v_mov_b32 v13, s31                                 // edge vgpr = Size1J- WG*MT - margin(8)
v_min_i32 v8, v13, v8                              // offset = (offset < edge) ? offset(v8) : edge(v13)
v_min_i32 v9, v13, v9                              // offset = (offset < edge) ? offset(v9) : edge(v13)
v_min_i32 v10, v13, v10                            // offset = (offset < edge) ? offset(v10) : edge(v13)


/* global read addresses: final offsets a */

GLOBAL_OFFSET_A vgprGlobalReadOffsetA+0, 11,  4, 13 // gROA_0_0_0_0
GLOBAL_OFFSET_A vgprGlobalReadOffsetA+1, 11,  5, 13 // gROA_0_0_1_0
GLOBAL_OFFSET_A vgprGlobalReadOffsetA+2, 11,  6, 13 // gROA_0_0_2_0
GLOBAL_OFFSET_A vgprGlobalReadOffsetA+3, 11,  7, 13 // gROA_0_0_3_0


/* global read addresses: final offsets b */

GLOBAL_OFFSET_B vgprGlobalReadOffsetB+0,  8, 12, 4 // gROB_0_0_0_0
GLOBAL_OFFSET_B vgprGlobalReadOffsetB+1,  9, 12, 4 // gROB_1_0_0_0
GLOBAL_OFFSET_B vgprGlobalReadOffsetB+2, 10, 12, 4 // gROB_2_0_0_0


/* global read addresses: addresses a */

/* max read offset = size[n] * stride[n-1] */
s_mul_hi_u32 s35, s[sgprWorkGroup0], 128           // WorkGroup[01] * MT
s_mul_i32 s34, s[sgprWorkGroup0], 128              // WorkGroup[01] * MT
s_mul_hi_u32 s35, s34, s[sgprStrideA0I]            // tlu=0, scaled tile-offset by stride
s_mul_i32 s34, s34, s[sgprStrideA0I]               // tlu=0, scaled tile-offset by stride
s_sub_u32 s[sgprShadowLimitA+0], s[sgprTensor2dSizeA], s34 // sub tileStart
s_subb_u32 s[sgprShadowLimitA+1], s[sgprTensor2dSizeA+1], s35 // sub tileStart
s_lshl_b64 s[sgprShadowLimitA:sgprShadowLimitA+1], s[sgprShadowLimitA:sgprShadowLimitA+1], 0x0 // Set limit to use bytes
s_add_u32 s[sgprShadowLimitA+0], s[sgprShadowLimitA+0], 8 // extend limit for pre-pad
s_addc_u32 s[sgprShadowLimitA+1], s[sgprShadowLimitA+1], 0 // extend limit for pre-pad
s_cmp_eq_u32 s[sgprShadowLimitA+1], 0              // are we within 2^32?
s_cselect_b32 s[sgprSrdA+2], s[sgprShadowLimitA+0], BufferLimitA // Move shadow to real if we are within 2^32
s_mul_hi_u32 s33, s[sgprStrideAK], s[sgprWorkGroup2] // Stride*WG
s_mul_i32 s32, s[sgprStrideAK], s[sgprWorkGroup2]  // Stride*WG
s_add_u32 s34, s34, s32                            // accum wg term to tilestart
s_addc_u32 s35, s35, s33                           // accum wg term to tilestart
                                                   // tileStart *= BPE (multiplier is 1, do nothing)
s_add_u32 s[sgprSrdA+0], s[sgprSrdA+0], s34        // SRD base = Address+ tileStart0
s_addc_u32 s[sgprSrdA+1], s[sgprSrdA+1], s35       // SRD base = Address+ tileStart1
s_mov_b32 s[sgprSrdA+3], Srd127_96                 // Set bits 127_96 in SRD


/* global read addresses: addresses b */

/* max read offset = size[n] * stride[n-1] */
s_mul_hi_u32 s35, s[sgprWorkGroup1], 96            // WorkGroup[01] * MT
s_mul_i32 s34, s[sgprWorkGroup1], 96               // WorkGroup[01] * MT
s_sub_u32 s[sgprShadowLimitB+0], s[sgprTensor2dSizeB], s34 // sub tileStart
s_subb_u32 s[sgprShadowLimitB+1], s[sgprTensor2dSizeB+1], s35 // sub tileStart
s_lshl_b64 s[sgprShadowLimitB:sgprShadowLimitB+1], s[sgprShadowLimitB:sgprShadowLimitB+1], 0x0 // Set limit to use bytes
s_add_u32 s[sgprShadowLimitB+0], s[sgprShadowLimitB+0], 8 // extend limit for pre-pad
s_addc_u32 s[sgprShadowLimitB+1], s[sgprShadowLimitB+1], 0 // extend limit for pre-pad
s_cmp_eq_u32 s[sgprShadowLimitB+1], 0              // are we within 2^32?
s_cselect_b32 s[sgprSrdB+2], s[sgprShadowLimitB+0], BufferLimitB // Move shadow to real if we are within 2^32
s_mul_hi_u32 s33, s[sgprStrideBK], s[sgprWorkGroup2] // Stride*WG
s_mul_i32 s32, s[sgprStrideBK], s[sgprWorkGroup2]  // Stride*WG
s_add_u32 s34, s34, s32                            // accum wg term to tilestart
s_addc_u32 s35, s35, s33                           // accum wg term to tilestart
                                                   // tileStart *= BPE (multiplier is 1, do nothing)
s_add_u32 s[sgprSrdB+0], s[sgprSrdB+0], s34        // SRD base = Address+ tileStart0
s_addc_u32 s[sgprSrdB+1], s[sgprSrdB+1], s35       // SRD base = Address+ tileStart1
s_mov_b32 s[sgprSrdB+3], Srd127_96                 // Set bits 127_96 in SRD


/* global read addresses: increments a */

s_mov_b32 s[sgprGlobalReadIncsA+0], DepthU*BpeA    // incrA (unrollIdx)


/* global read addresses: increments b */

s_mul_i32 s[sgprGlobalReadIncsB+0], DepthU*BpeB, s[sgprStrideBL] // incrB unrollIdx)

/* declare loop num iterations */


s_lshr_b32 s[sgprLoopCounterL], s[sgprSizesSum+0], 6 // s[sgprLoopCounterL] = s[sgprSizesSum+0] / 64
s_mov_b32 s[sgprOrigLoopCounter], s[sgprLoopCounterL] // copy loop counter

/* local read addresses: init pointers a */


/* localReadInitPointers */

/* local read addresses: init pointers b */


/* localReadInitPointers */


/* prefetch: global -> local */

s_cmp_eq_u32 s[sgprLoopCounterL], 0                // at last iteration?
s_cbranch_scc1 ShadowInitStart_10                  // skip to ShadowInitStart iter b/c numIter==0


_buffer_load_b64 v[vgprG2LA+0:vgprG2LA+0+1], v[vgprGlobalReadOffsetA+0], s[sgprSrdA:sgprSrdA+3], 0, offen offset:0 // G -> Reg 0_0_0_0
_buffer_load_b64 v[vgprG2LA+2:vgprG2LA+2+1], v[vgprGlobalReadOffsetA+1], s[sgprSrdA:sgprSrdA+3], 0, offen offset:0 // G -> Reg 0_0_1_0
_buffer_load_b64 v[vgprG2LA+4:vgprG2LA+4+1], v[vgprGlobalReadOffsetA+2], s[sgprSrdA:sgprSrdA+3], 0, offen offset:0 // G -> Reg 0_0_2_0
_buffer_load_b64 v[vgprG2LA+6:vgprG2LA+6+1], v[vgprGlobalReadOffsetA+3], s[sgprSrdA:sgprSrdA+3], 0, offen offset:0 // G -> Reg 0_0_3_0


_buffer_load_b64 v[vgprG2LB+0:vgprG2LB+0+1], v[vgprGlobalReadOffsetB+0], s[sgprSrdB:sgprSrdB+3], 0, offen offset:0 // G -> Reg 0_0_0_0
_buffer_load_b64 v[vgprG2LB+2:vgprG2LB+2+1], v[vgprGlobalReadOffsetB+1], s[sgprSrdB:sgprSrdB+3], 0, offen offset:0 // G -> Reg 1_0_0_0
_buffer_load_b64 v[vgprG2LB+4:vgprG2LB+4+1], v[vgprGlobalReadOffsetB+2], s[sgprSrdB:sgprSrdB+3], 0, offen offset:0 // G -> Reg 2_0_0_0


/* global read inc A loopL */
s_add_u32 s[sgprSrdA+0], s[sgprSrdA+0], s[sgprGlobalReadIncsA+0] // gra SRD += inc(lower)
s_addc_u32  s[sgprSrdA+1], s[sgprSrdA+1], 0        // gra SRD += inc(upper)
s_sub_u32 s[sgprShadowLimitA+0], s[sgprShadowLimitA+0], s[sgprGlobalReadIncsA+0] // limit -= inc)
s_subb_u32 s[sgprShadowLimitA+1], s[sgprShadowLimitA+1], 0 // limit -= inc)
s_cmp_eq_u32 s[sgprShadowLimitA+1], 0              // are we within 2^32?
s_cmov_b32 s[sgprSrdA+2], s[sgprShadowLimitA+0]    // Move shadow to real if we are within 2^32

/* global read inc B loopL */
s_add_u32 s[sgprSrdB+0], s[sgprSrdB+0], s[sgprGlobalReadIncsB+0] // gra SRD += inc(lower)
s_addc_u32  s[sgprSrdB+1], s[sgprSrdB+1], 0        // gra SRD += inc(upper)
s_sub_u32 s[sgprShadowLimitB+0], s[sgprShadowLimitB+0], s[sgprGlobalReadIncsB+0] // limit -= inc)
s_subb_u32 s[sgprShadowLimitB+1], s[sgprShadowLimitB+1], 0 // limit -= inc)
s_cmp_eq_u32 s[sgprShadowLimitB+1], 0              // are we within 2^32?
s_cmov_b32 s[sgprSrdB+2], s[sgprShadowLimitB+0]    // Move shadow to real if we are within 2^32


/******************************************/
/* End setupNewTile, isPap=False             */
/******************************************/

ShadowInitStart_10: // 

s_mov_b32 s[sgprSrdD+2], BufferOOB                 // 
s_mov_b32 s[sgprSrdD+3], Srd127_96                 // Set bits 127_96 in post-loop SRD

s_mov_b32 s[sgprSrdC+2], BufferOOB                 // 
s_mov_b32 s[sgprSrdC+3], Srd127_96                 // Set bits 127_96 in post-loop SRD


s_mul_i32 s34, MT1, s[sgprWorkGroup1]              // <- wg1*MT1
s_mul_hi_u32 s33, s34, s[sgprStrideC1J]            // CScale s34 by Stride
s_mul_i32 s32, s34, s[sgprStrideC1J]               // CScale s34 by Stride
s_lshl_b64 s[32:33], s[32:33], 2                   // scale by bpe
s_add_u32 s[sgprSrdC+0], s[sgprSrdC+0], s32        // add lo to SRD
s_addc_u32 s[sgprSrdC+1], s[sgprSrdC+1], s33       // add hi to SRD
s_mul_hi_u32 s33, s34, s[sgprStrideD1J]            // Scale s34 by Stride
s_mul_i32 s32, s34, s[sgprStrideD1J]               // Scale s34 by Stride
s_lshl_b64 s[32:33], s[32:33], 2                   // scale by bpe
s_add_u32 s[sgprSrdD+0], s[sgprSrdD+0], s32        // add lo to SRD
s_addc_u32 s[sgprSrdD+1], s[sgprSrdD+1], s33       // add hi to SRD

s_mul_hi_u32 s33, s[sgprWorkGroup2], s[sgprStrideCK] // CScale s[sgprWorkGroup2] by Stride
s_mul_i32 s32, s[sgprWorkGroup2], s[sgprStrideCK]  // CScale s[sgprWorkGroup2] by Stride
s_lshl_b64 s[32:33], s[32:33], 2                   // scale by bpe
s_add_u32 s[sgprSrdC+0], s[sgprSrdC+0], s32        // add lo to SRD
s_addc_u32 s[sgprSrdC+1], s[sgprSrdC+1], s33       // add hi to SRD
s_mul_hi_u32 s33, s[sgprWorkGroup2], s[sgprStrideDK] // Scale s[sgprWorkGroup2] by Stride
s_mul_i32 s32, s[sgprWorkGroup2], s[sgprStrideDK]  // Scale s[sgprWorkGroup2] by Stride
s_lshl_b64 s[32:33], s[32:33], 2                   // scale by bpe
s_add_u32 s[sgprSrdD+0], s[sgprSrdD+0], s32        // add lo to SRD
s_addc_u32 s[sgprSrdD+1], s[sgprSrdD+1], s33       // add hi to SRD


	;; [unrolled: 1-line block ×3, first 2 shown]
/* initC: remove C-tile 0-0 from pool */

/* initC: remove AB-tile 0-32 from pool */
v_accvgpr_write acc0, 0x0                          // initC
v_accvgpr_write acc1, 0x0                          // initC
v_accvgpr_write acc2, 0x0                          // initC
v_accvgpr_write acc3, 0x0                          // initC
v_accvgpr_write acc4, 0x0                          // initC
v_accvgpr_write acc5, 0x0                          // initC
v_accvgpr_write acc6, 0x0                          // initC
v_accvgpr_write acc7, 0x0                          // initC
v_accvgpr_write acc8, 0x0                          // initC
v_accvgpr_write acc9, 0x0                          // initC
v_accvgpr_write acc10, 0x0                         // initC
v_accvgpr_write acc11, 0x0                         // initC
v_accvgpr_write acc12, 0x0                         // initC
v_accvgpr_write acc13, 0x0                         // initC
v_accvgpr_write acc14, 0x0                         // initC
v_accvgpr_write acc15, 0x0                         // initC
v_accvgpr_write acc16, 0x0                         // initC
v_accvgpr_write acc17, 0x0                         // initC
v_accvgpr_write acc18, 0x0                         // initC
v_accvgpr_write acc19, 0x0                         // initC
v_accvgpr_write acc20, 0x0                         // initC
v_accvgpr_write acc21, 0x0                         // initC
v_accvgpr_write acc22, 0x0                         // initC
v_accvgpr_write acc23, 0x0                         // initC
v_accvgpr_write acc24, 0x0                         // initC
v_accvgpr_write acc25, 0x0                         // initC
v_accvgpr_write acc26, 0x0                         // initC
v_accvgpr_write acc27, 0x0                         // initC
v_accvgpr_write acc28, 0x0                         // initC
v_accvgpr_write acc29, 0x0                         // initC
v_accvgpr_write acc30, 0x0                         // initC
v_accvgpr_write acc31, 0x0                         // initC
v_accvgpr_write acc32, 0x0                         // initC
v_accvgpr_write acc33, 0x0                         // initC
v_accvgpr_write acc34, 0x0                         // initC
v_accvgpr_write acc35, 0x0                         // initC
v_accvgpr_write acc36, 0x0                         // initC
v_accvgpr_write acc37, 0x0                         // initC
v_accvgpr_write acc38, 0x0                         // initC
v_accvgpr_write acc39, 0x0                         // initC
v_accvgpr_write acc40, 0x0                         // initC
v_accvgpr_write acc41, 0x0                         // initC
v_accvgpr_write acc42, 0x0                         // initC
v_accvgpr_write acc43, 0x0                         // initC
v_accvgpr_write acc44, 0x0                         // initC
v_accvgpr_write acc45, 0x0                         // initC
v_accvgpr_write acc46, 0x0                         // initC
v_accvgpr_write acc47, 0x0                         // initC

s_cmp_eq_u32 s[sgprLoopCounterL], 0                // at last iteration?

/* after InitC, skip to end of prefetch last iter if numIter==0 */
s_cbranch_scc0 label_NoBranch_11                   // Only branch on scc1
s_getpc_B64 s[32:33]                               // addr of next instr
s_add_i32 s34, PrefetchGlobalLastIterEnd_5, 0x4    // target branch offset
s_add_u32 s32, s32, s34                            // add target branch offset
s_addc_u32 s33, s33, 0                             // add high and carry
s_setpc_b64 s[32:33]                               // branch to PrefetchGlobalLastIterEnd_5
label_NoBranch_11:

s_waitcnt vmcnt(0)                                 // lgkmcnt=-1 vmcnt=0 8wait for global read


/* local write a */
_ds_store_b64 v[vgprLocalWriteAddrA], v[vgprG2LA+0:vgprG2LA+0+1] offset:0 // lwoA_0_0_0_0 = (0*LSCA)*(MT0I+PAD) + (0*LSPA) = 0
_ds_store_b64 v[vgprLocalWriteAddrA], v[vgprG2LA+2:vgprG2LA+2+1] offset:576 // lwoA_0_0_1_0 = (0*LSCA)*(MT0I+PAD) + (1*LSPA) = 576
_ds_store_b64 v[vgprLocalWriteAddrA], v[vgprG2LA+4:vgprG2LA+4+1] offset:1152 // lwoA_0_0_2_0 = (0*LSCA)*(MT0I+PAD) + (2*LSPA) = 1152
_ds_store_b64 v[vgprLocalWriteAddrA], v[vgprG2LA+6:vgprG2LA+6+1] offset:1728 // lwoA_0_0_3_0 = (0*LSCA)*(MT0I+PAD) + (3*LSPA) = 1728

/* local write b */
_ds_store_b64 v[vgprLocalWriteAddrB], v[vgprG2LB+0:vgprG2LB+0+1] offset:0 // lwoB_0_0_0_0 = (0*LSCB) + (0*LSPB)(*MT1J+PAD) = 0
_ds_store_b64 v[vgprLocalWriteAddrB], v[vgprG2LB+2:vgprG2LB+2+1] offset:32 // lwoB_1_0_0_0 = (1*LSCB) + (0*LSPB)(*MT1J+PAD) = 32
_ds_store_b64 v[vgprLocalWriteAddrB], v[vgprG2LB+4:vgprG2LB+4+1] offset:64 // lwoB_2_0_0_0 = (2*LSCB) + (0*LSPB)(*MT1J+PAD) = 64


/* local write swap a */

v_xor_b32 v[vgprLocalWriteAddrA+0], 0x4000, v[vgprLocalWriteAddrA+0] // swap Red Blk


/* local write swap b */

v_xor_b32 v[vgprLocalWriteAddrB+0], 0x4000, v[vgprLocalWriteAddrB+0] // swap Red Blk



s_cmp_eq_u32 s[sgprLoopCounterL] 0x1               // PGR=2 but only 1 loop
s_cbranch_scc1 label_0012                          // PGR=2 but only 1 loop


_buffer_load_b64 v[vgprG2LA+0:vgprG2LA+0+1], v[vgprGlobalReadOffsetA+0], s[sgprSrdA:sgprSrdA+3], 0, offen offset:0 // G -> Reg 0_0_0_0
_buffer_load_b64 v[vgprG2LA+2:vgprG2LA+2+1], v[vgprGlobalReadOffsetA+1], s[sgprSrdA:sgprSrdA+3], 0, offen offset:0 // G -> Reg 0_0_1_0
_buffer_load_b64 v[vgprG2LA+4:vgprG2LA+4+1], v[vgprGlobalReadOffsetA+2], s[sgprSrdA:sgprSrdA+3], 0, offen offset:0 // G -> Reg 0_0_2_0
_buffer_load_b64 v[vgprG2LA+6:vgprG2LA+6+1], v[vgprGlobalReadOffsetA+3], s[sgprSrdA:sgprSrdA+3], 0, offen offset:0 // G -> Reg 0_0_3_0


_buffer_load_b64 v[vgprG2LB+0:vgprG2LB+0+1], v[vgprGlobalReadOffsetB+0], s[sgprSrdB:sgprSrdB+3], 0, offen offset:0 // G -> Reg 0_0_0_0
_buffer_load_b64 v[vgprG2LB+2:vgprG2LB+2+1], v[vgprGlobalReadOffsetB+1], s[sgprSrdB:sgprSrdB+3], 0, offen offset:0 // G -> Reg 1_0_0_0
_buffer_load_b64 v[vgprG2LB+4:vgprG2LB+4+1], v[vgprGlobalReadOffsetB+2], s[sgprSrdB:sgprSrdB+3], 0, offen offset:0 // G -> Reg 2_0_0_0

label_0012:                                        // 

s_waitcnt lgkmcnt(0)                               // lgkmcnt=0 vmcnt=-10prefetch wait for local write

// Skip force waitcnt0
s_barrier //


/* local read prefetch a */

_ds_load_b128 v[vgprValuA_X0_I0+0:vgprValuA_X0_I0+0+3], v[vgprLocalReadAddrA] offset:0 // L -> Reg lro=0 swapByteOffset=0 ti=128 vIdx=0 rIdx=0 oIdx=0 buffer=0 iui=0


/* local read prefetch b */

_ds_load_u8 v[vgprValuB_X0_I0+0], v[vgprLocalReadAddrB] offset:0 // L -> Reg lro=0 swapByteOffset=0 ti=32 vIdx=0 rIdx=0 oIdx=0 buffer=0 iui=0
_ds_load_u8 v59, v[vgprLocalReadAddrB] offset:96   // L -> Reg lro=0 swapByteOffset=0 ti=32 vIdx=0 rIdx=1 oIdx=0 buffer=0 iui=0
_ds_load_u8_d16_hi v60, v[vgprLocalReadAddrB] offset:192 // L -> Reg lro=0 swapByteOffset=0 ti=32 vIdx=0 rIdx=2 oIdx=0 buffer=0 iui=0
_ds_load_u8_d16_hi v61, v[vgprLocalReadAddrB] offset:288 // L -> Reg lro=0 swapByteOffset=0 ti=32 vIdx=0 rIdx=3 oIdx=0 buffer=0 iui=0
_ds_load_u8 v[vgprValuB_X0_I0+1], v[vgprLocalReadAddrB] offset:32 // L -> Reg lro=0 swapByteOffset=0 ti=32 vIdx=1 rIdx=0 oIdx=0 buffer=0 iui=0
_ds_load_u8 v62, v[vgprLocalReadAddrB] offset:128  // L -> Reg lro=0 swapByteOffset=0 ti=32 vIdx=1 rIdx=1 oIdx=0 buffer=0 iui=0
_ds_load_u8_d16_hi v63, v[vgprLocalReadAddrB] offset:224 // L -> Reg lro=0 swapByteOffset=0 ti=32 vIdx=1 rIdx=2 oIdx=0 buffer=0 iui=0
_ds_load_u8_d16_hi v64, v[vgprLocalReadAddrB] offset:320 // L -> Reg lro=0 swapByteOffset=0 ti=32 vIdx=1 rIdx=3 oIdx=0 buffer=0 iui=0
_ds_load_u8 v[vgprValuB_X0_I0+2], v[vgprLocalReadAddrB] offset:64 // L -> Reg lro=0 swapByteOffset=0 ti=32 vIdx=2 rIdx=0 oIdx=0 buffer=0 iui=0
_ds_load_u8 v65, v[vgprLocalReadAddrB] offset:160  // L -> Reg lro=0 swapByteOffset=0 ti=32 vIdx=2 rIdx=1 oIdx=0 buffer=0 iui=0
_ds_load_u8_d16_hi v66, v[vgprLocalReadAddrB] offset:256 // L -> Reg lro=0 swapByteOffset=0 ti=32 vIdx=2 rIdx=2 oIdx=0 buffer=0 iui=0
_ds_load_u8_d16_hi v67, v[vgprLocalReadAddrB] offset:352 // L -> Reg lro=0 swapByteOffset=0 ti=32 vIdx=2 rIdx=3 oIdx=0 buffer=0 iui=0


/* local read inc a */

/* N/A, lro->32 */
/* self.localReadDoCntA 1 self.localReadDoCntB 1 */


/* local read inc b */

/* N/A, lro->384 */
/* self.localReadDoCntA 1 self.localReadDoCntB 1 */


	;; [unrolled: 1-line block ×3, first 2 shown]
/******************************************/
/* Unrolled Loop(s) - Begin               */
/******************************************/

openLoopL_13:
s_cmp_eq_u32 s[sgprLoopCounterL], 0x1              // LoopCounterL < EndCounter
s_cbranch_scc1 label_0014                          // PGR=2 but only 1 loop, toPGR1
s_cmp_le_u32 s[sgprLoopCounterL], 0x2              // LoopCounterL < EndCounter
s_cbranch_scc1 LoopEndL_2                          // do not enter LoopL
LoopBeginL_1:


/******************************************/
/* Unrolled Loop 1/1 - Begin              */
/******************************************/

label_0015: // LoopCopy1 


/* Begin Each Unroll: Check VGPR.checkin for INT8 LW */


	;; [unrolled: 1-line block ×3, first 2 shown]
/* iter 0 */

/*  grEndMfmaIndex:2, lwStartMfmaIndex:4, lwEndMfmaIndex:20  */
/*  numMfmaForLR:2, barrierMfmaIndex:21, LocalWritePerMfma:0.395 */
/*  mfmaIndex:0  */
s_waitcnt lgkmcnt(0)                               // lgkmcnt=0 vmcnt=-1wait for prior local read local write old=0, new=0 newLW=0 newLR=0
/* pack scheduling: packAIdx:0, packBIdx:3 */
_v_lshl_or_b32 v[vgprValuB_X0_I0+0], v59, 0x8, v[vgprValuB_X0_I0+0] // pack two int8 Vgpr to one half Vgpr
_v_lshl_or_b32 v60, v61, 0x8, v60                  // pack two int8 Vgpr to one half Vgpr
v_or_b32 v[vgprValuB_X0_I0+0], v[vgprValuB_X0_I0+0], v60 // pack two half Vgpr to one Vgpr
_v_lshl_or_b32 v[vgprValuB_X0_I0+1], v62, 0x8, v[vgprValuB_X0_I0+1] // pack two int8 Vgpr to one half Vgpr
_v_lshl_or_b32 v63, v64, 0x8, v63                  // pack two int8 Vgpr to one half Vgpr
v_or_b32 v[vgprValuB_X0_I0+1], v[vgprValuB_X0_I0+1], v63 // pack two half Vgpr to one Vgpr
v_mfma_i32_32x32x8i8 a[0+0:15+0], v[vgprValuA_X0_I0+0+0+0], v[vgprValuB_X0_I0+0+0+0], a[0:15]
/*  mfmaIndex:1  */
_ds_load_b128 v[vgprValuA_X4_I0+0:vgprValuA_X4_I0+0+3], v[vgprLocalReadAddrA] offset:32 // L -> Reg lro=32 swapByteOffset=0 ti=128 vIdx=0 rIdx=0 oIdx=0 buffer=4 iui=0
_ds_load_u8 v[vgprValuB_X1_I0+0], v[vgprLocalReadAddrB] offset:384 // L -> Reg lro=384 swapByteOffset=0 ti=32 vIdx=0 rIdx=0 oIdx=0 buffer=1 iui=0
_ds_load_u8 v68, v[vgprLocalReadAddrB] offset:480  // L -> Reg lro=384 swapByteOffset=0 ti=32 vIdx=0 rIdx=1 oIdx=0 buffer=1 iui=0
_ds_load_u8_d16_hi v69, v[vgprLocalReadAddrB] offset:576 // L -> Reg lro=384 swapByteOffset=0 ti=32 vIdx=0 rIdx=2 oIdx=0 buffer=1 iui=0
_ds_load_u8_d16_hi v70, v[vgprLocalReadAddrB] offset:672 // L -> Reg lro=384 swapByteOffset=0 ti=32 vIdx=0 rIdx=3 oIdx=0 buffer=1 iui=0
_ds_load_u8 v[vgprValuB_X1_I0+1], v[vgprLocalReadAddrB] offset:416 // L -> Reg lro=384 swapByteOffset=0 ti=32 vIdx=1 rIdx=0 oIdx=0 buffer=1 iui=0
_ds_load_u8 v71, v[vgprLocalReadAddrB] offset:512  // L -> Reg lro=384 swapByteOffset=0 ti=32 vIdx=1 rIdx=1 oIdx=0 buffer=1 iui=0

/* global read inc A loopL */
s_add_u32 s[sgprSrdA+0], s[sgprSrdA+0], s[sgprGlobalReadIncsA+0] // gra SRD += inc(lower)
s_addc_u32  s[sgprSrdA+1], s[sgprSrdA+1], 0        // gra SRD += inc(upper)
s_sub_u32 s[sgprShadowLimitA+0], s[sgprShadowLimitA+0], s[sgprGlobalReadIncsA+0] // limit -= inc)
s_subb_u32 s[sgprShadowLimitA+1], s[sgprShadowLimitA+1], 0 // limit -= inc)
s_cmp_eq_u32 s[sgprShadowLimitA+1], 0              // are we within 2^32?
s_cmov_b32 s[sgprSrdA+2], s[sgprShadowLimitA+0]    // Move shadow to real if we are within 2^32

/* global read inc B loopL */
s_add_u32 s[sgprSrdB+0], s[sgprSrdB+0], s[sgprGlobalReadIncsB+0] // gra SRD += inc(lower)
/* pack scheduling: packAIdx:0, packBIdx:6 */
_v_lshl_or_b32 v[vgprValuB_X0_I0+2], v65, 0x8, v[vgprValuB_X0_I0+2] // pack two int8 Vgpr to one half Vgpr
_v_lshl_or_b32 v66, v67, 0x8, v66                  // pack two int8 Vgpr to one half Vgpr
v_or_b32 v[vgprValuB_X0_I0+2], v[vgprValuB_X0_I0+2], v66 // pack two half Vgpr to one Vgpr
v_mfma_i32_32x32x8i8 a[16+0:31+0], v[vgprValuA_X0_I0+0+0+0], v[vgprValuB_X0_I0+1+0+0], a[16:31]
/*  mfmaIndex:2  */
_ds_load_u8_d16_hi v72, v[vgprLocalReadAddrB] offset:608 // L -> Reg lro=384 swapByteOffset=0 ti=32 vIdx=1 rIdx=2 oIdx=0 buffer=1 iui=0
_ds_load_u8_d16_hi v73, v[vgprLocalReadAddrB] offset:704 // L -> Reg lro=384 swapByteOffset=0 ti=32 vIdx=1 rIdx=3 oIdx=0 buffer=1 iui=0
_ds_load_u8 v[vgprValuB_X1_I0+2], v[vgprLocalReadAddrB] offset:448 // L -> Reg lro=384 swapByteOffset=0 ti=32 vIdx=2 rIdx=0 oIdx=0 buffer=1 iui=0
_ds_load_u8 v74, v[vgprLocalReadAddrB] offset:544  // L -> Reg lro=384 swapByteOffset=0 ti=32 vIdx=2 rIdx=1 oIdx=0 buffer=1 iui=0
_ds_load_u8_d16_hi v75, v[vgprLocalReadAddrB] offset:640 // L -> Reg lro=384 swapByteOffset=0 ti=32 vIdx=2 rIdx=2 oIdx=0 buffer=1 iui=0
_ds_load_u8_d16_hi v76, v[vgprLocalReadAddrB] offset:736 // L -> Reg lro=384 swapByteOffset=0 ti=32 vIdx=2 rIdx=3 oIdx=0 buffer=1 iui=0
/* localReadsVacancy: latencyLeft 1 */
s_addc_u32  s[sgprSrdB+1], s[sgprSrdB+1], 0        // gra SRD += inc(upper)
s_sub_u32 s[sgprShadowLimitB+0], s[sgprShadowLimitB+0], s[sgprGlobalReadIncsB+0] // limit -= inc)
s_subb_u32 s[sgprShadowLimitB+1], s[sgprShadowLimitB+1], 0 // limit -= inc)
s_cmp_eq_u32 s[sgprShadowLimitB+1], 0              // are we within 2^32?
s_cmov_b32 s[sgprSrdB+2], s[sgprShadowLimitB+0]    // Move shadow to real if we are within 2^32
v_mfma_i32_32x32x8i8 a[32+0:47+0], v[vgprValuA_X0_I0+0+0+0], v[vgprValuB_X0_I0+2+0+0], a[32:47]
/* numPrefetchIter=0 */
/* dataAtIterA=-1 numReadsIterA=1 skipReadsIterA=1 readsPerIterA=1 */
/* dataAtIterB=-1 numReadsIterB=1 skipReadsIterB=1 readsPerIterB=12 */


/* iter 1 */

/*  grEndMfmaIndex:2, lwStartMfmaIndex:4, lwEndMfmaIndex:20  */
/*  numMfmaForLR:2, barrierMfmaIndex:21, LocalWritePerMfma:0.395 */
/*  mfmaIndex:3  */
_ds_load_u8 v[vgprValuB_X2_I0+0], v[vgprLocalReadAddrB] offset:768 // L -> Reg lro=768 swapByteOffset=0 ti=32 vIdx=0 rIdx=0 oIdx=0 buffer=2 iui=0
_ds_load_u8 v59, v[vgprLocalReadAddrB] offset:864  // L -> Reg lro=768 swapByteOffset=0 ti=32 vIdx=0 rIdx=1 oIdx=0 buffer=2 iui=0
_ds_load_u8_d16_hi v60, v[vgprLocalReadAddrB] offset:960 // L -> Reg lro=768 swapByteOffset=0 ti=32 vIdx=0 rIdx=2 oIdx=0 buffer=2 iui=0
_ds_load_u8_d16_hi v61, v[vgprLocalReadAddrB] offset:1056 // L -> Reg lro=768 swapByteOffset=0 ti=32 vIdx=0 rIdx=3 oIdx=0 buffer=2 iui=0
_ds_load_u8 v[vgprValuB_X2_I0+1], v[vgprLocalReadAddrB] offset:800 // L -> Reg lro=768 swapByteOffset=0 ti=32 vIdx=1 rIdx=0 oIdx=0 buffer=2 iui=0
_ds_load_u8 v62, v[vgprLocalReadAddrB] offset:896  // L -> Reg lro=768 swapByteOffset=0 ti=32 vIdx=1 rIdx=1 oIdx=0 buffer=2 iui=0
s_waitcnt lgkmcnt(6)                               // lgkmcnt=0 vmcnt=-1wait for prior local read local write old=0, new=6 newLW=0 newLR=6
/* pack scheduling: packAIdx:0, packBIdx:3 */
_v_lshl_or_b32 v[vgprValuB_X1_I0+0], v68, 0x8, v[vgprValuB_X1_I0+0] // pack two int8 Vgpr to one half Vgpr
_v_lshl_or_b32 v69, v70, 0x8, v69                  // pack two int8 Vgpr to one half Vgpr
v_or_b32 v[vgprValuB_X1_I0+0], v[vgprValuB_X1_I0+0], v69 // pack two half Vgpr to one Vgpr
_v_lshl_or_b32 v[vgprValuB_X1_I0+1], v71, 0x8, v[vgprValuB_X1_I0+1] // pack two int8 Vgpr to one half Vgpr
_v_lshl_or_b32 v72, v73, 0x8, v72                  // pack two int8 Vgpr to one half Vgpr
v_or_b32 v[vgprValuB_X1_I0+1], v[vgprValuB_X1_I0+1], v72 // pack two half Vgpr to one Vgpr
v_mfma_i32_32x32x8i8 a[0+0:15+0], v[vgprValuA_X0_I0+0+1+0], v[vgprValuB_X1_I0+0+0+0], a[0:15]
/*  mfmaIndex:4  */
_ds_load_u8_d16_hi v63, v[vgprLocalReadAddrB] offset:992 // L -> Reg lro=768 swapByteOffset=0 ti=32 vIdx=1 rIdx=2 oIdx=0 buffer=2 iui=0
_ds_load_u8_d16_hi v64, v[vgprLocalReadAddrB] offset:1088 // L -> Reg lro=768 swapByteOffset=0 ti=32 vIdx=1 rIdx=3 oIdx=0 buffer=2 iui=0
_ds_load_u8 v[vgprValuB_X2_I0+2], v[vgprLocalReadAddrB] offset:832 // L -> Reg lro=768 swapByteOffset=0 ti=32 vIdx=2 rIdx=0 oIdx=0 buffer=2 iui=0
_ds_load_u8 v65, v[vgprLocalReadAddrB] offset:928  // L -> Reg lro=768 swapByteOffset=0 ti=32 vIdx=2 rIdx=1 oIdx=0 buffer=2 iui=0
/* sched write - iter 1 writesPerItem=1 */
s_waitcnt vmcnt(0)                                 // lgkmcnt=-1 vmcnt=0wait for global read before writing to local
_ds_store_b64 v[vgprLocalWriteAddrA], v[vgprG2LA+0:vgprG2LA+0+1] offset:0 // lwoA_0_0_0_0 = (0*LSCA)*(MT0I+PAD) + (0*LSPA) = 0
/* pack scheduling: packAIdx:0, packBIdx:6 */
_v_lshl_or_b32 v[vgprValuB_X1_I0+2], v74, 0x8, v[vgprValuB_X1_I0+2] // pack two int8 Vgpr to one half Vgpr
_v_lshl_or_b32 v75, v76, 0x8, v75                  // pack two int8 Vgpr to one half Vgpr
v_or_b32 v[vgprValuB_X1_I0+2], v[vgprValuB_X1_I0+2], v75 // pack two half Vgpr to one Vgpr
v_mfma_i32_32x32x8i8 a[16+0:31+0], v[vgprValuA_X0_I0+0+1+0], v[vgprValuB_X1_I0+1+0+0], a[16:31]
/*  mfmaIndex:5  */
_ds_load_u8_d16_hi v66, v[vgprLocalReadAddrB] offset:1024 // L -> Reg lro=768 swapByteOffset=0 ti=32 vIdx=2 rIdx=2 oIdx=0 buffer=2 iui=0
_ds_load_u8_d16_hi v67, v[vgprLocalReadAddrB] offset:1120 // L -> Reg lro=768 swapByteOffset=0 ti=32 vIdx=2 rIdx=3 oIdx=0 buffer=2 iui=0
/* localReadsVacancy: latencyLeft 9 */
_ds_load_u8 v[vgprValuB_X3_I0+0], v[vgprLocalReadAddrB] offset:1152 // L -> Reg lro=1152 swapByteOffset=0 ti=32 vIdx=0 rIdx=0 oIdx=0 buffer=3 iui=0
_ds_load_u8 v[vgprValuB_X3_I0+1], v[vgprLocalReadAddrB] offset:1184 // L -> Reg lro=1152 swapByteOffset=0 ti=32 vIdx=1 rIdx=0 oIdx=0 buffer=3 iui=0
	;; [unrolled: 1-line block ×3, first 2 shown]
_ds_load_u8 v[vgprValuB_X4_I0+0], v[vgprLocalReadAddrB] offset:3072 // L -> Reg lro=3072 swapByteOffset=0 ti=32 vIdx=0 rIdx=0 oIdx=0 buffer=4 iui=0
_buffer_load_b64 v[vgprG2LA+0:vgprG2LA+0+1], v[vgprGlobalReadOffsetA+0], s[sgprSrdA:sgprSrdA+3], 0, offen offset:0 // G -> Reg 0_0_0_0
v_mfma_i32_32x32x8i8 a[32+0:47+0], v[vgprValuA_X0_I0+0+1+0], v[vgprValuB_X1_I0+2+0+0], a[32:47]
/* numPrefetchIter=0 */
/* dataAtIterA=-1 numReadsIterA=1 skipReadsIterA=0 readsPerIterA=1 */
/* dataAtIterB=0 numReadsIterB=2 skipReadsIterB=1 readsPerIterB=12 */


/* iter 2 */

/*  grEndMfmaIndex:2, lwStartMfmaIndex:4, lwEndMfmaIndex:20  */
/*  numMfmaForLR:2, barrierMfmaIndex:21, LocalWritePerMfma:0.395 */
/*  mfmaIndex:6  */
_ds_load_u8 v68, v[vgprLocalReadAddrB] offset:1248 // L -> Reg lro=1152 swapByteOffset=0 ti=32 vIdx=0 rIdx=1 oIdx=0 buffer=3 iui=0
_ds_load_u8_d16_hi v69, v[vgprLocalReadAddrB] offset:1344 // L -> Reg lro=1152 swapByteOffset=0 ti=32 vIdx=0 rIdx=2 oIdx=0 buffer=3 iui=0
_ds_load_u8_d16_hi v70, v[vgprLocalReadAddrB] offset:1440 // L -> Reg lro=1152 swapByteOffset=0 ti=32 vIdx=0 rIdx=3 oIdx=0 buffer=3 iui=0
/* sched write - iter 2 writesPerItem=1 */
s_waitcnt vmcnt(0)                                 // lgkmcnt=-1 vmcnt=0wait for global read before writing to local
_ds_store_b64 v[vgprLocalWriteAddrA], v[vgprG2LA+2:vgprG2LA+2+1] offset:576 // lwoA_0_0_1_0 = (0*LSCA)*(MT0I+PAD) + (1*LSPA) = 576
s_waitcnt lgkmcnt(8)                               // lgkmcnt=0 vmcnt=-1wait for prior local read local write old=3, new=7 newLW=1 newLR=3
/* pack scheduling: packAIdx:0, packBIdx:3 */
_v_lshl_or_b32 v[vgprValuB_X2_I0+0], v59, 0x8, v[vgprValuB_X2_I0+0] // pack two int8 Vgpr to one half Vgpr
_v_lshl_or_b32 v60, v61, 0x8, v60                  // pack two int8 Vgpr to one half Vgpr
v_or_b32 v[vgprValuB_X2_I0+0], v[vgprValuB_X2_I0+0], v60 // pack two half Vgpr to one Vgpr
_v_lshl_or_b32 v[vgprValuB_X2_I0+1], v62, 0x8, v[vgprValuB_X2_I0+1] // pack two int8 Vgpr to one half Vgpr
_v_lshl_or_b32 v63, v64, 0x8, v63                  // pack two int8 Vgpr to one half Vgpr
v_or_b32 v[vgprValuB_X2_I0+1], v[vgprValuB_X2_I0+1], v63 // pack two half Vgpr to one Vgpr
v_mfma_i32_32x32x8i8 a[0+0:15+0], v[vgprValuA_X0_I0+0+2+0], v[vgprValuB_X2_I0+0+0+0], a[0:15]
/*  mfmaIndex:7  */
_ds_load_u8 v71, v[vgprLocalReadAddrB] offset:1280 // L -> Reg lro=1152 swapByteOffset=0 ti=32 vIdx=1 rIdx=1 oIdx=0 buffer=3 iui=0
_ds_load_u8_d16_hi v72, v[vgprLocalReadAddrB] offset:1376 // L -> Reg lro=1152 swapByteOffset=0 ti=32 vIdx=1 rIdx=2 oIdx=0 buffer=3 iui=0
_ds_load_u8_d16_hi v73, v[vgprLocalReadAddrB] offset:1472 // L -> Reg lro=1152 swapByteOffset=0 ti=32 vIdx=1 rIdx=3 oIdx=0 buffer=3 iui=0
_ds_load_u8 v74, v[vgprLocalReadAddrB] offset:1312 // L -> Reg lro=1152 swapByteOffset=0 ti=32 vIdx=2 rIdx=1 oIdx=0 buffer=3 iui=0
_ds_load_u8_d16_hi v75, v[vgprLocalReadAddrB] offset:1408 // L -> Reg lro=1152 swapByteOffset=0 ti=32 vIdx=2 rIdx=2 oIdx=0 buffer=3 iui=0
_ds_load_u8_d16_hi v76, v[vgprLocalReadAddrB] offset:1504 // L -> Reg lro=1152 swapByteOffset=0 ti=32 vIdx=2 rIdx=3 oIdx=0 buffer=3 iui=0
/* localReadsVacancy: latencyLeft 1 */
_buffer_load_b64 v[vgprG2LA+2:vgprG2LA+2+1], v[vgprGlobalReadOffsetA+1], s[sgprSrdA:sgprSrdA+3], 0, offen offset:0 // G -> Reg 0_0_1_0
/* pack scheduling: packAIdx:0, packBIdx:6 */
_v_lshl_or_b32 v[vgprValuB_X2_I0+2], v65, 0x8, v[vgprValuB_X2_I0+2] // pack two int8 Vgpr to one half Vgpr
_v_lshl_or_b32 v66, v67, 0x8, v66                  // pack two int8 Vgpr to one half Vgpr
v_or_b32 v[vgprValuB_X2_I0+2], v[vgprValuB_X2_I0+2], v66 // pack two half Vgpr to one Vgpr
v_mfma_i32_32x32x8i8 a[16+0:31+0], v[vgprValuA_X0_I0+0+2+0], v[vgprValuB_X2_I0+1+0+0], a[16:31]
/*  mfmaIndex:8  */
/* localReadsVacancy: latencyLeft 13 */
_ds_load_u8 v[vgprValuB_X4_I0+1], v[vgprLocalReadAddrB] offset:3104 // L -> Reg lro=3072 swapByteOffset=0 ti=32 vIdx=1 rIdx=0 oIdx=0 buffer=4 iui=0
_ds_load_u8 v[vgprValuB_X4_I0+2], v[vgprLocalReadAddrB] offset:3136 // L -> Reg lro=3072 swapByteOffset=0 ti=32 vIdx=2 rIdx=0 oIdx=0 buffer=4 iui=0
_ds_load_u8 v[vgprValuB_X5_I0+0], v[vgprLocalReadAddrB] offset:3456 // L -> Reg lro=3456 swapByteOffset=0 ti=32 vIdx=0 rIdx=0 oIdx=0 buffer=5 iui=0
_ds_load_u8 v[vgprValuB_X5_I0+1], v[vgprLocalReadAddrB] offset:3488 // L -> Reg lro=3456 swapByteOffset=0 ti=32 vIdx=1 rIdx=0 oIdx=0 buffer=5 iui=0
	;; [unrolled: 1-line block ×3, first 2 shown]
_ds_load_u8 v[vgprValuB_X6_I0+0], v[vgprLocalReadAddrB] offset:3840 // L -> Reg lro=3840 swapByteOffset=0 ti=32 vIdx=0 rIdx=0 oIdx=0 buffer=6 iui=0
v_mfma_i32_32x32x8i8 a[32+0:47+0], v[vgprValuA_X0_I0+0+2+0], v[vgprValuB_X2_I0+2+0+0], a[32:47]
/* numPrefetchIter=0 */
/* dataAtIterA=-1 numReadsIterA=1 skipReadsIterA=0 readsPerIterA=1 */
/* dataAtIterB=1 numReadsIterB=3 skipReadsIterB=1 readsPerIterB=12 */


/* iter 3 */

/*  grEndMfmaIndex:2, lwStartMfmaIndex:4, lwEndMfmaIndex:20  */
/*  numMfmaForLR:2, barrierMfmaIndex:21, LocalWritePerMfma:0.395 */
/*  mfmaIndex:9  */
_ds_load_u8 v59, v[vgprLocalReadAddrB] offset:3168 // L -> Reg lro=3072 swapByteOffset=0 ti=32 vIdx=0 rIdx=1 oIdx=0 buffer=4 iui=0
_ds_load_u8_d16_hi v60, v[vgprLocalReadAddrB] offset:3264 // L -> Reg lro=3072 swapByteOffset=0 ti=32 vIdx=0 rIdx=2 oIdx=0 buffer=4 iui=0
_ds_load_u8_d16_hi v61, v[vgprLocalReadAddrB] offset:3360 // L -> Reg lro=3072 swapByteOffset=0 ti=32 vIdx=0 rIdx=3 oIdx=0 buffer=4 iui=0
/* sched write - iter 3 writesPerItem=1 */
s_waitcnt vmcnt(0)                                 // lgkmcnt=-1 vmcnt=0wait for global read before writing to local
_ds_store_b64 v[vgprLocalWriteAddrA], v[vgprG2LA+4:vgprG2LA+4+1] offset:1152 // lwoA_0_0_2_0 = (0*LSCA)*(MT0I+PAD) + (2*LSPA) = 1152
s_waitcnt lgkmcnt(10)                              // lgkmcnt=0 vmcnt=-1wait for prior local read local write old=2, new=6 newLW=1 newLR=3
/* pack scheduling: packAIdx:0, packBIdx:3 */
_v_lshl_or_b32 v[vgprValuB_X3_I0+0], v68, 0x8, v[vgprValuB_X3_I0+0] // pack two int8 Vgpr to one half Vgpr
_v_lshl_or_b32 v69, v70, 0x8, v69                  // pack two int8 Vgpr to one half Vgpr
v_or_b32 v[vgprValuB_X3_I0+0], v[vgprValuB_X3_I0+0], v69 // pack two half Vgpr to one Vgpr
_v_lshl_or_b32 v[vgprValuB_X3_I0+1], v71, 0x8, v[vgprValuB_X3_I0+1] // pack two int8 Vgpr to one half Vgpr
_v_lshl_or_b32 v72, v73, 0x8, v72                  // pack two int8 Vgpr to one half Vgpr
v_or_b32 v[vgprValuB_X3_I0+1], v[vgprValuB_X3_I0+1], v72 // pack two half Vgpr to one Vgpr
v_mfma_i32_32x32x8i8 a[0+0:15+0], v[vgprValuA_X0_I0+0+3+0], v[vgprValuB_X3_I0+0+0+0], a[0:15]
/*  mfmaIndex:10  */
_ds_load_u8 v62, v[vgprLocalReadAddrB] offset:3200 // L -> Reg lro=3072 swapByteOffset=0 ti=32 vIdx=1 rIdx=1 oIdx=0 buffer=4 iui=0
_ds_load_u8_d16_hi v63, v[vgprLocalReadAddrB] offset:3296 // L -> Reg lro=3072 swapByteOffset=0 ti=32 vIdx=1 rIdx=2 oIdx=0 buffer=4 iui=0
_ds_load_u8_d16_hi v64, v[vgprLocalReadAddrB] offset:3392 // L -> Reg lro=3072 swapByteOffset=0 ti=32 vIdx=1 rIdx=3 oIdx=0 buffer=4 iui=0
_ds_load_u8 v65, v[vgprLocalReadAddrB] offset:3232 // L -> Reg lro=3072 swapByteOffset=0 ti=32 vIdx=2 rIdx=1 oIdx=0 buffer=4 iui=0
_ds_load_u8_d16_hi v66, v[vgprLocalReadAddrB] offset:3328 // L -> Reg lro=3072 swapByteOffset=0 ti=32 vIdx=2 rIdx=2 oIdx=0 buffer=4 iui=0
_ds_load_u8_d16_hi v67, v[vgprLocalReadAddrB] offset:3424 // L -> Reg lro=3072 swapByteOffset=0 ti=32 vIdx=2 rIdx=3 oIdx=0 buffer=4 iui=0
/* localReadsVacancy: latencyLeft 1 */
_buffer_load_b64 v[vgprG2LA+4:vgprG2LA+4+1], v[vgprGlobalReadOffsetA+2], s[sgprSrdA:sgprSrdA+3], 0, offen offset:0 // G -> Reg 0_0_2_0
/* pack scheduling: packAIdx:0, packBIdx:6 */
_v_lshl_or_b32 v[vgprValuB_X3_I0+2], v74, 0x8, v[vgprValuB_X3_I0+2] // pack two int8 Vgpr to one half Vgpr
_v_lshl_or_b32 v75, v76, 0x8, v75                  // pack two int8 Vgpr to one half Vgpr
v_or_b32 v[vgprValuB_X3_I0+2], v[vgprValuB_X3_I0+2], v75 // pack two half Vgpr to one Vgpr
v_mfma_i32_32x32x8i8 a[16+0:31+0], v[vgprValuA_X0_I0+0+3+0], v[vgprValuB_X3_I0+1+0+0], a[16:31]
/*  mfmaIndex:11  */
/* localReadsVacancy: latencyLeft 7 */
_ds_load_u8 v[vgprValuB_X6_I0+1], v[vgprLocalReadAddrB] offset:3872 // L -> Reg lro=3840 swapByteOffset=0 ti=32 vIdx=1 rIdx=0 oIdx=0 buffer=6 iui=0
_ds_load_u8 v[vgprValuB_X6_I0+2], v[vgprLocalReadAddrB] offset:3904 // L -> Reg lro=3840 swapByteOffset=0 ti=32 vIdx=2 rIdx=0 oIdx=0 buffer=6 iui=0
_ds_load_u8 v[vgprValuB_X7_I0+0], v[vgprLocalReadAddrB] offset:4224 // L -> Reg lro=4224 swapByteOffset=0 ti=32 vIdx=0 rIdx=0 oIdx=0 buffer=7 iui=0
/* sched write - iter 3 writesPerItem=1 */
s_waitcnt vmcnt(0)                                 // lgkmcnt=-1 vmcnt=0wait for global read before writing to local
_ds_store_b64 v[vgprLocalWriteAddrA], v[vgprG2LA+6:vgprG2LA+6+1] offset:1728 // lwoA_0_0_3_0 = (0*LSCA)*(MT0I+PAD) + (3*LSPA) = 1728
v_mfma_i32_32x32x8i8 a[32+0:47+0], v[vgprValuA_X0_I0+0+3+0], v[vgprValuB_X3_I0+2+0+0], a[32:47]
/* numPrefetchIter=0 */
/* dataAtIterA=-1 numReadsIterA=1 skipReadsIterA=0 readsPerIterA=1 */
/* dataAtIterB=2 numReadsIterB=4 skipReadsIterB=1 readsPerIterB=12 */


/* iter 4 */

/*  grEndMfmaIndex:2, lwStartMfmaIndex:4, lwEndMfmaIndex:20  */
/*  numMfmaForLR:2, barrierMfmaIndex:21, LocalWritePerMfma:0.395 */
/*  mfmaIndex:12  */
_ds_load_u8 v68, v[vgprLocalReadAddrB] offset:3552 // L -> Reg lro=3456 swapByteOffset=0 ti=32 vIdx=0 rIdx=1 oIdx=0 buffer=5 iui=0
_ds_load_u8_d16_hi v69, v[vgprLocalReadAddrB] offset:3648 // L -> Reg lro=3456 swapByteOffset=0 ti=32 vIdx=0 rIdx=2 oIdx=0 buffer=5 iui=0
_ds_load_u8_d16_hi v70, v[vgprLocalReadAddrB] offset:3744 // L -> Reg lro=3456 swapByteOffset=0 ti=32 vIdx=0 rIdx=3 oIdx=0 buffer=5 iui=0
_ds_load_u8 v71, v[vgprLocalReadAddrB] offset:3584 // L -> Reg lro=3456 swapByteOffset=0 ti=32 vIdx=1 rIdx=1 oIdx=0 buffer=5 iui=0
_ds_load_u8_d16_hi v72, v[vgprLocalReadAddrB] offset:3680 // L -> Reg lro=3456 swapByteOffset=0 ti=32 vIdx=1 rIdx=2 oIdx=0 buffer=5 iui=0
_ds_load_u8_d16_hi v73, v[vgprLocalReadAddrB] offset:3776 // L -> Reg lro=3456 swapByteOffset=0 ti=32 vIdx=1 rIdx=3 oIdx=0 buffer=5 iui=0
_buffer_load_b64 v[vgprG2LA+6:vgprG2LA+6+1], v[vgprGlobalReadOffsetA+3], s[sgprSrdA:sgprSrdA+3], 0, offen offset:0 // G -> Reg 0_0_3_0
s_waitcnt lgkmcnt(10)                              // lgkmcnt=0 vmcnt=-1wait for prior local read local write old=0, new=7 newLW=1 newLR=6
/* pack scheduling: packAIdx:0, packBIdx:3 */
_v_lshl_or_b32 v[vgprValuB_X4_I0+0], v59, 0x8, v[vgprValuB_X4_I0+0] // pack two int8 Vgpr to one half Vgpr
_v_lshl_or_b32 v60, v61, 0x8, v60                  // pack two int8 Vgpr to one half Vgpr
v_or_b32 v[vgprValuB_X4_I0+0], v[vgprValuB_X4_I0+0], v60 // pack two half Vgpr to one Vgpr
_v_lshl_or_b32 v[vgprValuB_X4_I0+1], v62, 0x8, v[vgprValuB_X4_I0+1] // pack two int8 Vgpr to one half Vgpr
_v_lshl_or_b32 v63, v64, 0x8, v63                  // pack two int8 Vgpr to one half Vgpr
v_or_b32 v[vgprValuB_X4_I0+1], v[vgprValuB_X4_I0+1], v63 // pack two half Vgpr to one Vgpr
v_mfma_i32_32x32x8i8 a[0+0:15+0], v[vgprValuA_X4_I0+0+0+0], v[vgprValuB_X4_I0+0+0+0], a[0:15]
/*  mfmaIndex:13  */
_ds_load_u8 v74, v[vgprLocalReadAddrB] offset:3616 // L -> Reg lro=3456 swapByteOffset=0 ti=32 vIdx=2 rIdx=1 oIdx=0 buffer=5 iui=0
_ds_load_u8_d16_hi v75, v[vgprLocalReadAddrB] offset:3712 // L -> Reg lro=3456 swapByteOffset=0 ti=32 vIdx=2 rIdx=2 oIdx=0 buffer=5 iui=0
_ds_load_u8_d16_hi v76, v[vgprLocalReadAddrB] offset:3808 // L -> Reg lro=3456 swapByteOffset=0 ti=32 vIdx=2 rIdx=3 oIdx=0 buffer=5 iui=0
/* localReadsVacancy: latencyLeft 7 */
_ds_load_u8 v[vgprValuB_X7_I0+1], v[vgprLocalReadAddrB] offset:4256 // L -> Reg lro=4224 swapByteOffset=0 ti=32 vIdx=1 rIdx=0 oIdx=0 buffer=7 iui=0
_ds_load_u8 v[vgprValuB_X7_I0+2], v[vgprLocalReadAddrB] offset:4288 // L -> Reg lro=4224 swapByteOffset=0 ti=32 vIdx=2 rIdx=0 oIdx=0 buffer=7 iui=0
/* pack scheduling: packAIdx:0, packBIdx:6 */
_v_lshl_or_b32 v[vgprValuB_X4_I0+2], v65, 0x8, v[vgprValuB_X4_I0+2] // pack two int8 Vgpr to one half Vgpr
_v_lshl_or_b32 v66, v67, 0x8, v66                  // pack two int8 Vgpr to one half Vgpr
v_or_b32 v[vgprValuB_X4_I0+2], v[vgprValuB_X4_I0+2], v66 // pack two half Vgpr to one Vgpr
v_mfma_i32_32x32x8i8 a[16+0:31+0], v[vgprValuA_X4_I0+0+0+0], v[vgprValuB_X4_I0+1+0+0], a[16:31]
/*  mfmaIndex:14  */
/* localReadsVacancy: latencyLeft 7 */
/* sched write - iter 4 writesPerItem=1 */
s_waitcnt vmcnt(0)                                 // lgkmcnt=-1 vmcnt=0wait for global read before writing to local
_ds_store_b64 v[vgprLocalWriteAddrB], v[vgprG2LB+0:vgprG2LB+0+1] offset:0 // lwoB_0_0_0_0 = (0*LSCB) + (0*LSPB)(*MT1J+PAD) = 0
v_mfma_i32_32x32x8i8 a[32+0:47+0], v[vgprValuA_X4_I0+0+0+0], v[vgprValuB_X4_I0+2+0+0], a[32:47]
/* numPrefetchIter=0 */
/* dataAtIterA=0 numReadsIterA=1 skipReadsIterA=0 readsPerIterA=1 */
/* dataAtIterB=3 numReadsIterB=5 skipReadsIterB=1 readsPerIterB=12 */


/* iter 5 */

/*  grEndMfmaIndex:2, lwStartMfmaIndex:4, lwEndMfmaIndex:20  */
/*  numMfmaForLR:2, barrierMfmaIndex:21, LocalWritePerMfma:0.395 */
/*  mfmaIndex:15  */
_ds_load_u8 v59, v[vgprLocalReadAddrB] offset:3936 // L -> Reg lro=3840 swapByteOffset=0 ti=32 vIdx=0 rIdx=1 oIdx=0 buffer=6 iui=0
_ds_load_u8_d16_hi v60, v[vgprLocalReadAddrB] offset:4032 // L -> Reg lro=3840 swapByteOffset=0 ti=32 vIdx=0 rIdx=2 oIdx=0 buffer=6 iui=0
_ds_load_u8_d16_hi v61, v[vgprLocalReadAddrB] offset:4128 // L -> Reg lro=3840 swapByteOffset=0 ti=32 vIdx=0 rIdx=3 oIdx=0 buffer=6 iui=0
_ds_load_u8 v62, v[vgprLocalReadAddrB] offset:3968 // L -> Reg lro=3840 swapByteOffset=0 ti=32 vIdx=1 rIdx=1 oIdx=0 buffer=6 iui=0
_ds_load_u8_d16_hi v63, v[vgprLocalReadAddrB] offset:4064 // L -> Reg lro=3840 swapByteOffset=0 ti=32 vIdx=1 rIdx=2 oIdx=0 buffer=6 iui=0
_ds_load_u8_d16_hi v64, v[vgprLocalReadAddrB] offset:4160 // L -> Reg lro=3840 swapByteOffset=0 ti=32 vIdx=1 rIdx=3 oIdx=0 buffer=6 iui=0
_buffer_load_b64 v[vgprG2LB+0:vgprG2LB+0+1], v[vgprGlobalReadOffsetB+0], s[sgprSrdB:sgprSrdB+3], 0, offen offset:0 // G -> Reg 0_0_0_0
s_waitcnt lgkmcnt(9)                               // lgkmcnt=0 vmcnt=-1wait for prior local read local write old=0, new=7 newLW=1 newLR=6
/* pack scheduling: packAIdx:0, packBIdx:3 */
_v_lshl_or_b32 v[vgprValuB_X5_I0+0], v68, 0x8, v[vgprValuB_X5_I0+0] // pack two int8 Vgpr to one half Vgpr
_v_lshl_or_b32 v69, v70, 0x8, v69                  // pack two int8 Vgpr to one half Vgpr
v_or_b32 v[vgprValuB_X5_I0+0], v[vgprValuB_X5_I0+0], v69 // pack two half Vgpr to one Vgpr
_v_lshl_or_b32 v[vgprValuB_X5_I0+1], v71, 0x8, v[vgprValuB_X5_I0+1] // pack two int8 Vgpr to one half Vgpr
_v_lshl_or_b32 v72, v73, 0x8, v72                  // pack two int8 Vgpr to one half Vgpr
v_or_b32 v[vgprValuB_X5_I0+1], v[vgprValuB_X5_I0+1], v72 // pack two half Vgpr to one Vgpr
v_mfma_i32_32x32x8i8 a[0+0:15+0], v[vgprValuA_X4_I0+0+1+0], v[vgprValuB_X5_I0+0+0+0], a[0:15]
/*  mfmaIndex:16  */
_ds_load_u8 v65, v[vgprLocalReadAddrB] offset:4000 // L -> Reg lro=3840 swapByteOffset=0 ti=32 vIdx=2 rIdx=1 oIdx=0 buffer=6 iui=0
_ds_load_u8_d16_hi v66, v[vgprLocalReadAddrB] offset:4096 // L -> Reg lro=3840 swapByteOffset=0 ti=32 vIdx=2 rIdx=2 oIdx=0 buffer=6 iui=0
_ds_load_u8_d16_hi v67, v[vgprLocalReadAddrB] offset:4192 // L -> Reg lro=3840 swapByteOffset=0 ti=32 vIdx=2 rIdx=3 oIdx=0 buffer=6 iui=0
/* localReadsVacancy: latencyLeft 1 */
/* sched write - iter 5 writesPerItem=1 */
s_waitcnt vmcnt(0)                                 // lgkmcnt=-1 vmcnt=0wait for global read before writing to local
_ds_store_b64 v[vgprLocalWriteAddrB], v[vgprG2LB+2:vgprG2LB+2+1] offset:32 // lwoB_1_0_0_0 = (1*LSCB) + (0*LSPB)(*MT1J+PAD) = 32
/* pack scheduling: packAIdx:0, packBIdx:6 */
_v_lshl_or_b32 v[vgprValuB_X5_I0+2], v74, 0x8, v[vgprValuB_X5_I0+2] // pack two int8 Vgpr to one half Vgpr
_v_lshl_or_b32 v75, v76, 0x8, v75                  // pack two int8 Vgpr to one half Vgpr
v_or_b32 v[vgprValuB_X5_I0+2], v[vgprValuB_X5_I0+2], v75 // pack two half Vgpr to one Vgpr
v_mfma_i32_32x32x8i8 a[16+0:31+0], v[vgprValuA_X4_I0+0+1+0], v[vgprValuB_X5_I0+1+0+0], a[16:31]
/*  mfmaIndex:17  */
/* localReadsVacancy: latencyLeft 13 */
_buffer_load_b64 v[vgprG2LB+2:vgprG2LB+2+1], v[vgprGlobalReadOffsetB+1], s[sgprSrdB:sgprSrdB+3], 0, offen offset:0 // G -> Reg 1_0_0_0
v_mfma_i32_32x32x8i8 a[32+0:47+0], v[vgprValuA_X4_I0+0+1+0], v[vgprValuB_X5_I0+2+0+0], a[32:47]
/* numPrefetchIter=0 */
/* dataAtIterA=0 numReadsIterA=1 skipReadsIterA=0 readsPerIterA=1 */
/* dataAtIterB=4 numReadsIterB=6 skipReadsIterB=1 readsPerIterB=12 */


/* iter 6 (reset local read pointers iteration)  (swap and reset local write pointers iteration)  (swap local read pointers iteration)  */

/*  grEndMfmaIndex:2, lwStartMfmaIndex:4, lwEndMfmaIndex:20  */
/*  numMfmaForLR:2, barrierMfmaIndex:21, LocalWritePerMfma:0.395 */
/*  mfmaIndex:18  */
_ds_load_u8 v68, v[vgprLocalReadAddrB] offset:4320 // L -> Reg lro=4224 swapByteOffset=0 ti=32 vIdx=0 rIdx=1 oIdx=0 buffer=7 iui=0
_ds_load_u8_d16_hi v69, v[vgprLocalReadAddrB] offset:4416 // L -> Reg lro=4224 swapByteOffset=0 ti=32 vIdx=0 rIdx=2 oIdx=0 buffer=7 iui=0
_ds_load_u8_d16_hi v70, v[vgprLocalReadAddrB] offset:4512 // L -> Reg lro=4224 swapByteOffset=0 ti=32 vIdx=0 rIdx=3 oIdx=0 buffer=7 iui=0
_ds_load_u8 v71, v[vgprLocalReadAddrB] offset:4352 // L -> Reg lro=4224 swapByteOffset=0 ti=32 vIdx=1 rIdx=1 oIdx=0 buffer=7 iui=0
_ds_load_u8_d16_hi v72, v[vgprLocalReadAddrB] offset:4448 // L -> Reg lro=4224 swapByteOffset=0 ti=32 vIdx=1 rIdx=2 oIdx=0 buffer=7 iui=0
_ds_load_u8_d16_hi v73, v[vgprLocalReadAddrB] offset:4544 // L -> Reg lro=4224 swapByteOffset=0 ti=32 vIdx=1 rIdx=3 oIdx=0 buffer=7 iui=0
s_waitcnt lgkmcnt(7)                               // lgkmcnt=0 vmcnt=-1wait for prior local read local write old=0, new=7 newLW=1 newLR=6
/* pack scheduling: packAIdx:0, packBIdx:3 */
_v_lshl_or_b32 v[vgprValuB_X6_I0+0], v59, 0x8, v[vgprValuB_X6_I0+0] // pack two int8 Vgpr to one half Vgpr
_v_lshl_or_b32 v60, v61, 0x8, v60                  // pack two int8 Vgpr to one half Vgpr
v_or_b32 v[vgprValuB_X6_I0+0], v[vgprValuB_X6_I0+0], v60 // pack two half Vgpr to one Vgpr
_v_lshl_or_b32 v[vgprValuB_X6_I0+1], v62, 0x8, v[vgprValuB_X6_I0+1] // pack two int8 Vgpr to one half Vgpr
_v_lshl_or_b32 v63, v64, 0x8, v63                  // pack two int8 Vgpr to one half Vgpr
v_or_b32 v[vgprValuB_X6_I0+1], v[vgprValuB_X6_I0+1], v63 // pack two half Vgpr to one Vgpr
v_mfma_i32_32x32x8i8 a[0+0:15+0], v[vgprValuA_X4_I0+0+2+0], v[vgprValuB_X6_I0+0+0+0], a[0:15]
/*  mfmaIndex:19  */
_ds_load_u8 v74, v[vgprLocalReadAddrB] offset:4384 // L -> Reg lro=4224 swapByteOffset=0 ti=32 vIdx=2 rIdx=1 oIdx=0 buffer=7 iui=0
_ds_load_u8_d16_hi v75, v[vgprLocalReadAddrB] offset:4480 // L -> Reg lro=4224 swapByteOffset=0 ti=32 vIdx=2 rIdx=2 oIdx=0 buffer=7 iui=0
_ds_load_u8_d16_hi v76, v[vgprLocalReadAddrB] offset:4576 // L -> Reg lro=4224 swapByteOffset=0 ti=32 vIdx=2 rIdx=3 oIdx=0 buffer=7 iui=0
/* localReadsVacancy: latencyLeft 1 */
/* sched write - iter 6 writesPerItem=1 */
s_waitcnt vmcnt(0)                                 // lgkmcnt=-1 vmcnt=0wait for global read before writing to local
_ds_store_b64 v[vgprLocalWriteAddrB], v[vgprG2LB+4:vgprG2LB+4+1] offset:64 // lwoB_2_0_0_0 = (2*LSCB) + (0*LSPB)(*MT1J+PAD) = 64
/* pack scheduling: packAIdx:0, packBIdx:6 */
_v_lshl_or_b32 v[vgprValuB_X6_I0+2], v65, 0x8, v[vgprValuB_X6_I0+2] // pack two int8 Vgpr to one half Vgpr
_v_lshl_or_b32 v66, v67, 0x8, v66                  // pack two int8 Vgpr to one half Vgpr
v_or_b32 v[vgprValuB_X6_I0+2], v[vgprValuB_X6_I0+2], v66 // pack two half Vgpr to one Vgpr
v_mfma_i32_32x32x8i8 a[16+0:31+0], v[vgprValuA_X4_I0+0+2+0], v[vgprValuB_X6_I0+1+0+0], a[16:31]
/*  mfmaIndex:20  */
/* localReadsVacancy: latencyLeft 13 */
_buffer_load_b64 v[vgprG2LB+4:vgprG2LB+4+1], v[vgprGlobalReadOffsetB+2], s[sgprSrdB:sgprSrdB+3], 0, offen offset:0 // G -> Reg 2_0_0_0

/* local write swap offsets a */
v_xor_b32 v[vgprLocalWriteAddrA+0], 0x4000, v[vgprLocalWriteAddrA+0] // swap Red Blk

/* local write swap offsets b */
v_xor_b32 v[vgprLocalWriteAddrB+0], 0x4000, v[vgprLocalWriteAddrB+0] // swap Red Blk

/* local read swap offsets a */
v_xor_b32 v[vgprLocalReadAddrA], 0x4000, v[vgprLocalReadAddrA] // swap Red Blk

/* local read swap offsets b */
v_xor_b32 v[vgprLocalReadAddrB], 0x4000, v[vgprLocalReadAddrB] // swap Red Blk

/* local read init pointers a */

/* localReadInitPointers */

/* local read init pointers b */

/* localReadInitPointers */
v_mfma_i32_32x32x8i8 a[32+0:47+0], v[vgprValuA_X4_I0+0+2+0], v[vgprValuB_X6_I0+2+0+0], a[32:47]
/* numPrefetchIter=0 */
/* dataAtIterA=0 numReadsIterA=1 skipReadsIterA=0 readsPerIterA=1 */
/* dataAtIterB=5 numReadsIterB=7 skipReadsIterB=1 readsPerIterB=12 */


/* iter 7 */

/*  grEndMfmaIndex:2, lwStartMfmaIndex:4, lwEndMfmaIndex:20  */
/*  numMfmaForLR:2, barrierMfmaIndex:21, LocalWritePerMfma:0.395 */
/*  mfmaIndex:21  */
s_waitcnt lgkmcnt(0)                               // lgkmcnt=0 vmcnt=-13wait for local write
// Skip force waitcnt0
s_barrier //
s_waitcnt lgkmcnt(1)                               // lgkmcnt=0 vmcnt=-1wait for prior local read local write old=0, new=1 newLW=1 newLR=0
/* pack scheduling: packAIdx:0, packBIdx:3 */
_v_lshl_or_b32 v[vgprValuB_X7_I0+0], v68, 0x8, v[vgprValuB_X7_I0+0] // pack two int8 Vgpr to one half Vgpr
_v_lshl_or_b32 v69, v70, 0x8, v69                  // pack two int8 Vgpr to one half Vgpr
v_or_b32 v[vgprValuB_X7_I0+0], v[vgprValuB_X7_I0+0], v69 // pack two half Vgpr to one Vgpr
_v_lshl_or_b32 v[vgprValuB_X7_I0+1], v71, 0x8, v[vgprValuB_X7_I0+1] // pack two int8 Vgpr to one half Vgpr
_v_lshl_or_b32 v72, v73, 0x8, v72                  // pack two int8 Vgpr to one half Vgpr
v_or_b32 v[vgprValuB_X7_I0+1], v[vgprValuB_X7_I0+1], v72 // pack two half Vgpr to one Vgpr
v_mfma_i32_32x32x8i8 a[0+0:15+0], v[vgprValuA_X4_I0+0+3+0], v[vgprValuB_X7_I0+0+0+0], a[0:15]
/*  mfmaIndex:22  */
_ds_load_b128 v[vgprValuA_X0_I0+0:vgprValuA_X0_I0+0+3], v[vgprLocalReadAddrA] offset:0 // L -> Reg lro=0 swapByteOffset=0 ti=128 vIdx=0 rIdx=0 oIdx=0 buffer=0 iui=0
_ds_load_u8 v[vgprValuB_X0_I0+0], v[vgprLocalReadAddrB] offset:0 // L -> Reg lro=0 swapByteOffset=0 ti=32 vIdx=0 rIdx=0 oIdx=0 buffer=0 iui=0
_ds_load_u8 v59, v[vgprLocalReadAddrB] offset:96   // L -> Reg lro=0 swapByteOffset=0 ti=32 vIdx=0 rIdx=1 oIdx=0 buffer=0 iui=0
_ds_load_u8_d16_hi v60, v[vgprLocalReadAddrB] offset:192 // L -> Reg lro=0 swapByteOffset=0 ti=32 vIdx=0 rIdx=2 oIdx=0 buffer=0 iui=0
_ds_load_u8_d16_hi v61, v[vgprLocalReadAddrB] offset:288 // L -> Reg lro=0 swapByteOffset=0 ti=32 vIdx=0 rIdx=3 oIdx=0 buffer=0 iui=0
_ds_load_u8 v[vgprValuB_X0_I0+1], v[vgprLocalReadAddrB] offset:32 // L -> Reg lro=0 swapByteOffset=0 ti=32 vIdx=1 rIdx=0 oIdx=0 buffer=0 iui=0
_ds_load_u8 v62, v[vgprLocalReadAddrB] offset:128  // L -> Reg lro=0 swapByteOffset=0 ti=32 vIdx=1 rIdx=1 oIdx=0 buffer=0 iui=0
/* pack scheduling: packAIdx:0, packBIdx:6 */
_v_lshl_or_b32 v[vgprValuB_X7_I0+2], v74, 0x8, v[vgprValuB_X7_I0+2] // pack two int8 Vgpr to one half Vgpr
_v_lshl_or_b32 v75, v76, 0x8, v75                  // pack two int8 Vgpr to one half Vgpr
v_or_b32 v[vgprValuB_X7_I0+2], v[vgprValuB_X7_I0+2], v75 // pack two half Vgpr to one Vgpr
v_mfma_i32_32x32x8i8 a[16+0:31+0], v[vgprValuA_X4_I0+0+3+0], v[vgprValuB_X7_I0+1+0+0], a[16:31]
/*  mfmaIndex:23  */
_ds_load_u8_d16_hi v63, v[vgprLocalReadAddrB] offset:224 // L -> Reg lro=0 swapByteOffset=0 ti=32 vIdx=1 rIdx=2 oIdx=0 buffer=0 iui=0
_ds_load_u8_d16_hi v64, v[vgprLocalReadAddrB] offset:320 // L -> Reg lro=0 swapByteOffset=0 ti=32 vIdx=1 rIdx=3 oIdx=0 buffer=0 iui=0
_ds_load_u8 v[vgprValuB_X0_I0+2], v[vgprLocalReadAddrB] offset:64 // L -> Reg lro=0 swapByteOffset=0 ti=32 vIdx=2 rIdx=0 oIdx=0 buffer=0 iui=0
_ds_load_u8 v65, v[vgprLocalReadAddrB] offset:160  // L -> Reg lro=0 swapByteOffset=0 ti=32 vIdx=2 rIdx=1 oIdx=0 buffer=0 iui=0
_ds_load_u8_d16_hi v66, v[vgprLocalReadAddrB] offset:256 // L -> Reg lro=0 swapByteOffset=0 ti=32 vIdx=2 rIdx=2 oIdx=0 buffer=0 iui=0
_ds_load_u8_d16_hi v67, v[vgprLocalReadAddrB] offset:352 // L -> Reg lro=0 swapByteOffset=0 ti=32 vIdx=2 rIdx=3 oIdx=0 buffer=0 iui=0
v_mfma_i32_32x32x8i8 a[32+0:47+0], v[vgprValuA_X4_I0+0+3+0], v[vgprValuB_X7_I0+2+0+0], a[32:47]
/* numPrefetchIter=1 */
/* dataAtIterA=0 numReadsIterA=1 skipReadsIterA=1 readsPerIterA=1 */
/* dataAtIterB=6 numReadsIterB=7 skipReadsIterB=1 readsPerIterB=12 */


/******************************************/
/* Unrolled Loop - End                    */
/******************************************/


/* closeLoop loopL finalLoop=1 tailLoop=0 */
s_sub_u32 s[sgprLoopCounterL], s[sgprLoopCounterL], 1 // dec counterL
s_cmp_eq_i32 s[sgprLoopCounterL], 0x2              // counterL==2
s_cbranch_scc0 LoopBeginL_1                        // restart LoopL
LoopEndL_2:


/* Before NLL: Check VGPR.checkin for INT8 LW */


/******************************************/
/* Ord. NoGlobalLoadLoop - Begin                                      */
/******************************************/


	;; [unrolled: 1-line block ×3, first 2 shown]
/* iter 0 */

/*  grEndMfmaIndex:2, lwStartMfmaIndex:4, lwEndMfmaIndex:20  */
/*  numMfmaForLR:2, barrierMfmaIndex:21, LocalWritePerMfma:0.395 */
/*  mfmaIndex:0  */
s_waitcnt lgkmcnt(0)                               // lgkmcnt=0 vmcnt=-1wait for prior local read local write old=0, new=0 newLW=0 newLR=0
/* pack scheduling: packAIdx:0, packBIdx:3 */
_v_lshl_or_b32 v[vgprValuB_X0_I0+0], v59, 0x8, v[vgprValuB_X0_I0+0] // pack two int8 Vgpr to one half Vgpr
_v_lshl_or_b32 v60, v61, 0x8, v60                  // pack two int8 Vgpr to one half Vgpr
v_or_b32 v[vgprValuB_X0_I0+0], v[vgprValuB_X0_I0+0], v60 // pack two half Vgpr to one Vgpr
_v_lshl_or_b32 v[vgprValuB_X0_I0+1], v62, 0x8, v[vgprValuB_X0_I0+1] // pack two int8 Vgpr to one half Vgpr
_v_lshl_or_b32 v63, v64, 0x8, v63                  // pack two int8 Vgpr to one half Vgpr
v_or_b32 v[vgprValuB_X0_I0+1], v[vgprValuB_X0_I0+1], v63 // pack two half Vgpr to one Vgpr
v_mfma_i32_32x32x8i8 a[0+0:15+0], v[vgprValuA_X0_I0+0+0+0], v[vgprValuB_X0_I0+0+0+0], a[0:15]
/*  mfmaIndex:1  */
_ds_load_b128 v[vgprValuA_X4_I0+0:vgprValuA_X4_I0+0+3], v[vgprLocalReadAddrA] offset:32 // L -> Reg lro=32 swapByteOffset=0 ti=128 vIdx=0 rIdx=0 oIdx=0 buffer=4 iui=0
_ds_load_u8 v[vgprValuB_X1_I0+0], v[vgprLocalReadAddrB] offset:384 // L -> Reg lro=384 swapByteOffset=0 ti=32 vIdx=0 rIdx=0 oIdx=0 buffer=1 iui=0
_ds_load_u8 v68, v[vgprLocalReadAddrB] offset:480  // L -> Reg lro=384 swapByteOffset=0 ti=32 vIdx=0 rIdx=1 oIdx=0 buffer=1 iui=0
_ds_load_u8_d16_hi v69, v[vgprLocalReadAddrB] offset:576 // L -> Reg lro=384 swapByteOffset=0 ti=32 vIdx=0 rIdx=2 oIdx=0 buffer=1 iui=0
_ds_load_u8_d16_hi v70, v[vgprLocalReadAddrB] offset:672 // L -> Reg lro=384 swapByteOffset=0 ti=32 vIdx=0 rIdx=3 oIdx=0 buffer=1 iui=0
_ds_load_u8 v[vgprValuB_X1_I0+1], v[vgprLocalReadAddrB] offset:416 // L -> Reg lro=384 swapByteOffset=0 ti=32 vIdx=1 rIdx=0 oIdx=0 buffer=1 iui=0
_ds_load_u8 v71, v[vgprLocalReadAddrB] offset:512  // L -> Reg lro=384 swapByteOffset=0 ti=32 vIdx=1 rIdx=1 oIdx=0 buffer=1 iui=0

/* global read inc A loopL */
s_add_u32 s[sgprSrdA+0], s[sgprSrdA+0], s[sgprGlobalReadIncsA+0] // gra SRD += inc(lower)
s_addc_u32  s[sgprSrdA+1], s[sgprSrdA+1], 0        // gra SRD += inc(upper)
s_sub_u32 s[sgprShadowLimitA+0], s[sgprShadowLimitA+0], s[sgprGlobalReadIncsA+0] // limit -= inc)
s_subb_u32 s[sgprShadowLimitA+1], s[sgprShadowLimitA+1], 0 // limit -= inc)
s_cmp_eq_u32 s[sgprShadowLimitA+1], 0              // are we within 2^32?
s_cmov_b32 s[sgprSrdA+2], s[sgprShadowLimitA+0]    // Move shadow to real if we are within 2^32

/* global read inc B loopL */
s_add_u32 s[sgprSrdB+0], s[sgprSrdB+0], s[sgprGlobalReadIncsB+0] // gra SRD += inc(lower)
/* pack scheduling: packAIdx:0, packBIdx:6 */
_v_lshl_or_b32 v[vgprValuB_X0_I0+2], v65, 0x8, v[vgprValuB_X0_I0+2] // pack two int8 Vgpr to one half Vgpr
_v_lshl_or_b32 v66, v67, 0x8, v66                  // pack two int8 Vgpr to one half Vgpr
v_or_b32 v[vgprValuB_X0_I0+2], v[vgprValuB_X0_I0+2], v66 // pack two half Vgpr to one Vgpr
v_mfma_i32_32x32x8i8 a[16+0:31+0], v[vgprValuA_X0_I0+0+0+0], v[vgprValuB_X0_I0+1+0+0], a[16:31]
/*  mfmaIndex:2  */
_ds_load_u8_d16_hi v72, v[vgprLocalReadAddrB] offset:608 // L -> Reg lro=384 swapByteOffset=0 ti=32 vIdx=1 rIdx=2 oIdx=0 buffer=1 iui=0
_ds_load_u8_d16_hi v73, v[vgprLocalReadAddrB] offset:704 // L -> Reg lro=384 swapByteOffset=0 ti=32 vIdx=1 rIdx=3 oIdx=0 buffer=1 iui=0
_ds_load_u8 v[vgprValuB_X1_I0+2], v[vgprLocalReadAddrB] offset:448 // L -> Reg lro=384 swapByteOffset=0 ti=32 vIdx=2 rIdx=0 oIdx=0 buffer=1 iui=0
_ds_load_u8 v74, v[vgprLocalReadAddrB] offset:544  // L -> Reg lro=384 swapByteOffset=0 ti=32 vIdx=2 rIdx=1 oIdx=0 buffer=1 iui=0
_ds_load_u8_d16_hi v75, v[vgprLocalReadAddrB] offset:640 // L -> Reg lro=384 swapByteOffset=0 ti=32 vIdx=2 rIdx=2 oIdx=0 buffer=1 iui=0
_ds_load_u8_d16_hi v76, v[vgprLocalReadAddrB] offset:736 // L -> Reg lro=384 swapByteOffset=0 ti=32 vIdx=2 rIdx=3 oIdx=0 buffer=1 iui=0
/* localReadsVacancy: latencyLeft 1 */
s_addc_u32  s[sgprSrdB+1], s[sgprSrdB+1], 0        // gra SRD += inc(upper)
s_sub_u32 s[sgprShadowLimitB+0], s[sgprShadowLimitB+0], s[sgprGlobalReadIncsB+0] // limit -= inc)
s_subb_u32 s[sgprShadowLimitB+1], s[sgprShadowLimitB+1], 0 // limit -= inc)
s_cmp_eq_u32 s[sgprShadowLimitB+1], 0              // are we within 2^32?
s_cmov_b32 s[sgprSrdB+2], s[sgprShadowLimitB+0]    // Move shadow to real if we are within 2^32
v_mfma_i32_32x32x8i8 a[32+0:47+0], v[vgprValuA_X0_I0+0+0+0], v[vgprValuB_X0_I0+2+0+0], a[32:47]
/* numPrefetchIter=0 */
/* dataAtIterA=-1 numReadsIterA=1 skipReadsIterA=1 readsPerIterA=1 */
/* dataAtIterB=-1 numReadsIterB=1 skipReadsIterB=1 readsPerIterB=12 */


/* iter 1 */

/*  grEndMfmaIndex:2, lwStartMfmaIndex:4, lwEndMfmaIndex:20  */
/*  numMfmaForLR:2, barrierMfmaIndex:21, LocalWritePerMfma:0.395 */
/*  mfmaIndex:3  */
_ds_load_u8 v[vgprValuB_X2_I0+0], v[vgprLocalReadAddrB] offset:768 // L -> Reg lro=768 swapByteOffset=0 ti=32 vIdx=0 rIdx=0 oIdx=0 buffer=2 iui=0
_ds_load_u8 v59, v[vgprLocalReadAddrB] offset:864  // L -> Reg lro=768 swapByteOffset=0 ti=32 vIdx=0 rIdx=1 oIdx=0 buffer=2 iui=0
_ds_load_u8_d16_hi v60, v[vgprLocalReadAddrB] offset:960 // L -> Reg lro=768 swapByteOffset=0 ti=32 vIdx=0 rIdx=2 oIdx=0 buffer=2 iui=0
_ds_load_u8_d16_hi v61, v[vgprLocalReadAddrB] offset:1056 // L -> Reg lro=768 swapByteOffset=0 ti=32 vIdx=0 rIdx=3 oIdx=0 buffer=2 iui=0
_ds_load_u8 v[vgprValuB_X2_I0+1], v[vgprLocalReadAddrB] offset:800 // L -> Reg lro=768 swapByteOffset=0 ti=32 vIdx=1 rIdx=0 oIdx=0 buffer=2 iui=0
_ds_load_u8 v62, v[vgprLocalReadAddrB] offset:896  // L -> Reg lro=768 swapByteOffset=0 ti=32 vIdx=1 rIdx=1 oIdx=0 buffer=2 iui=0
s_waitcnt lgkmcnt(6)                               // lgkmcnt=0 vmcnt=-1wait for prior local read local write old=0, new=6 newLW=0 newLR=6
/* pack scheduling: packAIdx:0, packBIdx:3 */
_v_lshl_or_b32 v[vgprValuB_X1_I0+0], v68, 0x8, v[vgprValuB_X1_I0+0] // pack two int8 Vgpr to one half Vgpr
_v_lshl_or_b32 v69, v70, 0x8, v69                  // pack two int8 Vgpr to one half Vgpr
v_or_b32 v[vgprValuB_X1_I0+0], v[vgprValuB_X1_I0+0], v69 // pack two half Vgpr to one Vgpr
_v_lshl_or_b32 v[vgprValuB_X1_I0+1], v71, 0x8, v[vgprValuB_X1_I0+1] // pack two int8 Vgpr to one half Vgpr
_v_lshl_or_b32 v72, v73, 0x8, v72                  // pack two int8 Vgpr to one half Vgpr
v_or_b32 v[vgprValuB_X1_I0+1], v[vgprValuB_X1_I0+1], v72 // pack two half Vgpr to one Vgpr
v_mfma_i32_32x32x8i8 a[0+0:15+0], v[vgprValuA_X0_I0+0+1+0], v[vgprValuB_X1_I0+0+0+0], a[0:15]
/*  mfmaIndex:4  */
_ds_load_u8_d16_hi v63, v[vgprLocalReadAddrB] offset:992 // L -> Reg lro=768 swapByteOffset=0 ti=32 vIdx=1 rIdx=2 oIdx=0 buffer=2 iui=0
_ds_load_u8_d16_hi v64, v[vgprLocalReadAddrB] offset:1088 // L -> Reg lro=768 swapByteOffset=0 ti=32 vIdx=1 rIdx=3 oIdx=0 buffer=2 iui=0
_ds_load_u8 v[vgprValuB_X2_I0+2], v[vgprLocalReadAddrB] offset:832 // L -> Reg lro=768 swapByteOffset=0 ti=32 vIdx=2 rIdx=0 oIdx=0 buffer=2 iui=0
_ds_load_u8 v65, v[vgprLocalReadAddrB] offset:928  // L -> Reg lro=768 swapByteOffset=0 ti=32 vIdx=2 rIdx=1 oIdx=0 buffer=2 iui=0
/* sched write - iter 1 writesPerItem=1 */
s_waitcnt vmcnt(0)                                 // lgkmcnt=-1 vmcnt=0wait for global read before writing to local
_ds_store_b64 v[vgprLocalWriteAddrA], v[vgprG2LA+0:vgprG2LA+0+1] offset:0 // lwoA_0_0_0_0 = (0*LSCA)*(MT0I+PAD) + (0*LSPA) = 0
/* pack scheduling: packAIdx:0, packBIdx:6 */
_v_lshl_or_b32 v[vgprValuB_X1_I0+2], v74, 0x8, v[vgprValuB_X1_I0+2] // pack two int8 Vgpr to one half Vgpr
_v_lshl_or_b32 v75, v76, 0x8, v75                  // pack two int8 Vgpr to one half Vgpr
v_or_b32 v[vgprValuB_X1_I0+2], v[vgprValuB_X1_I0+2], v75 // pack two half Vgpr to one Vgpr
v_mfma_i32_32x32x8i8 a[16+0:31+0], v[vgprValuA_X0_I0+0+1+0], v[vgprValuB_X1_I0+1+0+0], a[16:31]
/*  mfmaIndex:5  */
_ds_load_u8_d16_hi v66, v[vgprLocalReadAddrB] offset:1024 // L -> Reg lro=768 swapByteOffset=0 ti=32 vIdx=2 rIdx=2 oIdx=0 buffer=2 iui=0
_ds_load_u8_d16_hi v67, v[vgprLocalReadAddrB] offset:1120 // L -> Reg lro=768 swapByteOffset=0 ti=32 vIdx=2 rIdx=3 oIdx=0 buffer=2 iui=0
/* localReadsVacancy: latencyLeft 9 */
_ds_load_u8 v[vgprValuB_X3_I0+0], v[vgprLocalReadAddrB] offset:1152 // L -> Reg lro=1152 swapByteOffset=0 ti=32 vIdx=0 rIdx=0 oIdx=0 buffer=3 iui=0
_ds_load_u8 v[vgprValuB_X3_I0+1], v[vgprLocalReadAddrB] offset:1184 // L -> Reg lro=1152 swapByteOffset=0 ti=32 vIdx=1 rIdx=0 oIdx=0 buffer=3 iui=0
	;; [unrolled: 1-line block ×3, first 2 shown]
_ds_load_u8 v[vgprValuB_X4_I0+0], v[vgprLocalReadAddrB] offset:3072 // L -> Reg lro=3072 swapByteOffset=0 ti=32 vIdx=0 rIdx=0 oIdx=0 buffer=4 iui=0
v_mfma_i32_32x32x8i8 a[32+0:47+0], v[vgprValuA_X0_I0+0+1+0], v[vgprValuB_X1_I0+2+0+0], a[32:47]
/* numPrefetchIter=0 */
/* dataAtIterA=-1 numReadsIterA=1 skipReadsIterA=0 readsPerIterA=1 */
/* dataAtIterB=0 numReadsIterB=2 skipReadsIterB=1 readsPerIterB=12 */


/* iter 2 */

/*  grEndMfmaIndex:2, lwStartMfmaIndex:4, lwEndMfmaIndex:20  */
/*  numMfmaForLR:2, barrierMfmaIndex:21, LocalWritePerMfma:0.395 */
/*  mfmaIndex:6  */
_ds_load_u8 v68, v[vgprLocalReadAddrB] offset:1248 // L -> Reg lro=1152 swapByteOffset=0 ti=32 vIdx=0 rIdx=1 oIdx=0 buffer=3 iui=0
_ds_load_u8_d16_hi v69, v[vgprLocalReadAddrB] offset:1344 // L -> Reg lro=1152 swapByteOffset=0 ti=32 vIdx=0 rIdx=2 oIdx=0 buffer=3 iui=0
_ds_load_u8_d16_hi v70, v[vgprLocalReadAddrB] offset:1440 // L -> Reg lro=1152 swapByteOffset=0 ti=32 vIdx=0 rIdx=3 oIdx=0 buffer=3 iui=0
/* sched write - iter 2 writesPerItem=1 */
s_waitcnt vmcnt(0)                                 // lgkmcnt=-1 vmcnt=0wait for global read before writing to local
_ds_store_b64 v[vgprLocalWriteAddrA], v[vgprG2LA+2:vgprG2LA+2+1] offset:576 // lwoA_0_0_1_0 = (0*LSCA)*(MT0I+PAD) + (1*LSPA) = 576
s_waitcnt lgkmcnt(8)                               // lgkmcnt=0 vmcnt=-1wait for prior local read local write old=3, new=7 newLW=1 newLR=3
/* pack scheduling: packAIdx:0, packBIdx:3 */
_v_lshl_or_b32 v[vgprValuB_X2_I0+0], v59, 0x8, v[vgprValuB_X2_I0+0] // pack two int8 Vgpr to one half Vgpr
_v_lshl_or_b32 v60, v61, 0x8, v60                  // pack two int8 Vgpr to one half Vgpr
v_or_b32 v[vgprValuB_X2_I0+0], v[vgprValuB_X2_I0+0], v60 // pack two half Vgpr to one Vgpr
_v_lshl_or_b32 v[vgprValuB_X2_I0+1], v62, 0x8, v[vgprValuB_X2_I0+1] // pack two int8 Vgpr to one half Vgpr
_v_lshl_or_b32 v63, v64, 0x8, v63                  // pack two int8 Vgpr to one half Vgpr
v_or_b32 v[vgprValuB_X2_I0+1], v[vgprValuB_X2_I0+1], v63 // pack two half Vgpr to one Vgpr
v_mfma_i32_32x32x8i8 a[0+0:15+0], v[vgprValuA_X0_I0+0+2+0], v[vgprValuB_X2_I0+0+0+0], a[0:15]
/*  mfmaIndex:7  */
_ds_load_u8 v71, v[vgprLocalReadAddrB] offset:1280 // L -> Reg lro=1152 swapByteOffset=0 ti=32 vIdx=1 rIdx=1 oIdx=0 buffer=3 iui=0
_ds_load_u8_d16_hi v72, v[vgprLocalReadAddrB] offset:1376 // L -> Reg lro=1152 swapByteOffset=0 ti=32 vIdx=1 rIdx=2 oIdx=0 buffer=3 iui=0
_ds_load_u8_d16_hi v73, v[vgprLocalReadAddrB] offset:1472 // L -> Reg lro=1152 swapByteOffset=0 ti=32 vIdx=1 rIdx=3 oIdx=0 buffer=3 iui=0
_ds_load_u8 v74, v[vgprLocalReadAddrB] offset:1312 // L -> Reg lro=1152 swapByteOffset=0 ti=32 vIdx=2 rIdx=1 oIdx=0 buffer=3 iui=0
_ds_load_u8_d16_hi v75, v[vgprLocalReadAddrB] offset:1408 // L -> Reg lro=1152 swapByteOffset=0 ti=32 vIdx=2 rIdx=2 oIdx=0 buffer=3 iui=0
_ds_load_u8_d16_hi v76, v[vgprLocalReadAddrB] offset:1504 // L -> Reg lro=1152 swapByteOffset=0 ti=32 vIdx=2 rIdx=3 oIdx=0 buffer=3 iui=0
/* localReadsVacancy: latencyLeft 1 */
/* pack scheduling: packAIdx:0, packBIdx:6 */
_v_lshl_or_b32 v[vgprValuB_X2_I0+2], v65, 0x8, v[vgprValuB_X2_I0+2] // pack two int8 Vgpr to one half Vgpr
_v_lshl_or_b32 v66, v67, 0x8, v66                  // pack two int8 Vgpr to one half Vgpr
v_or_b32 v[vgprValuB_X2_I0+2], v[vgprValuB_X2_I0+2], v66 // pack two half Vgpr to one Vgpr
v_mfma_i32_32x32x8i8 a[16+0:31+0], v[vgprValuA_X0_I0+0+2+0], v[vgprValuB_X2_I0+1+0+0], a[16:31]
/*  mfmaIndex:8  */
/* localReadsVacancy: latencyLeft 13 */
_ds_load_u8 v[vgprValuB_X4_I0+1], v[vgprLocalReadAddrB] offset:3104 // L -> Reg lro=3072 swapByteOffset=0 ti=32 vIdx=1 rIdx=0 oIdx=0 buffer=4 iui=0
_ds_load_u8 v[vgprValuB_X4_I0+2], v[vgprLocalReadAddrB] offset:3136 // L -> Reg lro=3072 swapByteOffset=0 ti=32 vIdx=2 rIdx=0 oIdx=0 buffer=4 iui=0
_ds_load_u8 v[vgprValuB_X5_I0+0], v[vgprLocalReadAddrB] offset:3456 // L -> Reg lro=3456 swapByteOffset=0 ti=32 vIdx=0 rIdx=0 oIdx=0 buffer=5 iui=0
_ds_load_u8 v[vgprValuB_X5_I0+1], v[vgprLocalReadAddrB] offset:3488 // L -> Reg lro=3456 swapByteOffset=0 ti=32 vIdx=1 rIdx=0 oIdx=0 buffer=5 iui=0
	;; [unrolled: 1-line block ×3, first 2 shown]
_ds_load_u8 v[vgprValuB_X6_I0+0], v[vgprLocalReadAddrB] offset:3840 // L -> Reg lro=3840 swapByteOffset=0 ti=32 vIdx=0 rIdx=0 oIdx=0 buffer=6 iui=0
v_mfma_i32_32x32x8i8 a[32+0:47+0], v[vgprValuA_X0_I0+0+2+0], v[vgprValuB_X2_I0+2+0+0], a[32:47]
/* numPrefetchIter=0 */
/* dataAtIterA=-1 numReadsIterA=1 skipReadsIterA=0 readsPerIterA=1 */
/* dataAtIterB=1 numReadsIterB=3 skipReadsIterB=1 readsPerIterB=12 */


/* iter 3 */

/*  grEndMfmaIndex:2, lwStartMfmaIndex:4, lwEndMfmaIndex:20  */
/*  numMfmaForLR:2, barrierMfmaIndex:21, LocalWritePerMfma:0.395 */
/*  mfmaIndex:9  */
_ds_load_u8 v59, v[vgprLocalReadAddrB] offset:3168 // L -> Reg lro=3072 swapByteOffset=0 ti=32 vIdx=0 rIdx=1 oIdx=0 buffer=4 iui=0
_ds_load_u8_d16_hi v60, v[vgprLocalReadAddrB] offset:3264 // L -> Reg lro=3072 swapByteOffset=0 ti=32 vIdx=0 rIdx=2 oIdx=0 buffer=4 iui=0
_ds_load_u8_d16_hi v61, v[vgprLocalReadAddrB] offset:3360 // L -> Reg lro=3072 swapByteOffset=0 ti=32 vIdx=0 rIdx=3 oIdx=0 buffer=4 iui=0
/* sched write - iter 3 writesPerItem=1 */
s_waitcnt vmcnt(0)                                 // lgkmcnt=-1 vmcnt=0wait for global read before writing to local
_ds_store_b64 v[vgprLocalWriteAddrA], v[vgprG2LA+4:vgprG2LA+4+1] offset:1152 // lwoA_0_0_2_0 = (0*LSCA)*(MT0I+PAD) + (2*LSPA) = 1152
s_waitcnt lgkmcnt(10)                              // lgkmcnt=0 vmcnt=-1wait for prior local read local write old=2, new=6 newLW=1 newLR=3
/* pack scheduling: packAIdx:0, packBIdx:3 */
_v_lshl_or_b32 v[vgprValuB_X3_I0+0], v68, 0x8, v[vgprValuB_X3_I0+0] // pack two int8 Vgpr to one half Vgpr
_v_lshl_or_b32 v69, v70, 0x8, v69                  // pack two int8 Vgpr to one half Vgpr
v_or_b32 v[vgprValuB_X3_I0+0], v[vgprValuB_X3_I0+0], v69 // pack two half Vgpr to one Vgpr
_v_lshl_or_b32 v[vgprValuB_X3_I0+1], v71, 0x8, v[vgprValuB_X3_I0+1] // pack two int8 Vgpr to one half Vgpr
_v_lshl_or_b32 v72, v73, 0x8, v72                  // pack two int8 Vgpr to one half Vgpr
v_or_b32 v[vgprValuB_X3_I0+1], v[vgprValuB_X3_I0+1], v72 // pack two half Vgpr to one Vgpr
v_mfma_i32_32x32x8i8 a[0+0:15+0], v[vgprValuA_X0_I0+0+3+0], v[vgprValuB_X3_I0+0+0+0], a[0:15]
/*  mfmaIndex:10  */
_ds_load_u8 v62, v[vgprLocalReadAddrB] offset:3200 // L -> Reg lro=3072 swapByteOffset=0 ti=32 vIdx=1 rIdx=1 oIdx=0 buffer=4 iui=0
_ds_load_u8_d16_hi v63, v[vgprLocalReadAddrB] offset:3296 // L -> Reg lro=3072 swapByteOffset=0 ti=32 vIdx=1 rIdx=2 oIdx=0 buffer=4 iui=0
_ds_load_u8_d16_hi v64, v[vgprLocalReadAddrB] offset:3392 // L -> Reg lro=3072 swapByteOffset=0 ti=32 vIdx=1 rIdx=3 oIdx=0 buffer=4 iui=0
_ds_load_u8 v65, v[vgprLocalReadAddrB] offset:3232 // L -> Reg lro=3072 swapByteOffset=0 ti=32 vIdx=2 rIdx=1 oIdx=0 buffer=4 iui=0
_ds_load_u8_d16_hi v66, v[vgprLocalReadAddrB] offset:3328 // L -> Reg lro=3072 swapByteOffset=0 ti=32 vIdx=2 rIdx=2 oIdx=0 buffer=4 iui=0
_ds_load_u8_d16_hi v67, v[vgprLocalReadAddrB] offset:3424 // L -> Reg lro=3072 swapByteOffset=0 ti=32 vIdx=2 rIdx=3 oIdx=0 buffer=4 iui=0
/* localReadsVacancy: latencyLeft 1 */
/* pack scheduling: packAIdx:0, packBIdx:6 */
_v_lshl_or_b32 v[vgprValuB_X3_I0+2], v74, 0x8, v[vgprValuB_X3_I0+2] // pack two int8 Vgpr to one half Vgpr
_v_lshl_or_b32 v75, v76, 0x8, v75                  // pack two int8 Vgpr to one half Vgpr
v_or_b32 v[vgprValuB_X3_I0+2], v[vgprValuB_X3_I0+2], v75 // pack two half Vgpr to one Vgpr
v_mfma_i32_32x32x8i8 a[16+0:31+0], v[vgprValuA_X0_I0+0+3+0], v[vgprValuB_X3_I0+1+0+0], a[16:31]
/*  mfmaIndex:11  */
/* localReadsVacancy: latencyLeft 7 */
_ds_load_u8 v[vgprValuB_X6_I0+1], v[vgprLocalReadAddrB] offset:3872 // L -> Reg lro=3840 swapByteOffset=0 ti=32 vIdx=1 rIdx=0 oIdx=0 buffer=6 iui=0
_ds_load_u8 v[vgprValuB_X6_I0+2], v[vgprLocalReadAddrB] offset:3904 // L -> Reg lro=3840 swapByteOffset=0 ti=32 vIdx=2 rIdx=0 oIdx=0 buffer=6 iui=0
_ds_load_u8 v[vgprValuB_X7_I0+0], v[vgprLocalReadAddrB] offset:4224 // L -> Reg lro=4224 swapByteOffset=0 ti=32 vIdx=0 rIdx=0 oIdx=0 buffer=7 iui=0
/* sched write - iter 3 writesPerItem=1 */
s_waitcnt vmcnt(0)                                 // lgkmcnt=-1 vmcnt=0wait for global read before writing to local
_ds_store_b64 v[vgprLocalWriteAddrA], v[vgprG2LA+6:vgprG2LA+6+1] offset:1728 // lwoA_0_0_3_0 = (0*LSCA)*(MT0I+PAD) + (3*LSPA) = 1728
v_mfma_i32_32x32x8i8 a[32+0:47+0], v[vgprValuA_X0_I0+0+3+0], v[vgprValuB_X3_I0+2+0+0], a[32:47]
/* numPrefetchIter=0 */
/* dataAtIterA=-1 numReadsIterA=1 skipReadsIterA=0 readsPerIterA=1 */
/* dataAtIterB=2 numReadsIterB=4 skipReadsIterB=1 readsPerIterB=12 */


/* iter 4 */

/*  grEndMfmaIndex:2, lwStartMfmaIndex:4, lwEndMfmaIndex:20  */
/*  numMfmaForLR:2, barrierMfmaIndex:21, LocalWritePerMfma:0.395 */
/*  mfmaIndex:12  */
_ds_load_u8 v68, v[vgprLocalReadAddrB] offset:3552 // L -> Reg lro=3456 swapByteOffset=0 ti=32 vIdx=0 rIdx=1 oIdx=0 buffer=5 iui=0
_ds_load_u8_d16_hi v69, v[vgprLocalReadAddrB] offset:3648 // L -> Reg lro=3456 swapByteOffset=0 ti=32 vIdx=0 rIdx=2 oIdx=0 buffer=5 iui=0
_ds_load_u8_d16_hi v70, v[vgprLocalReadAddrB] offset:3744 // L -> Reg lro=3456 swapByteOffset=0 ti=32 vIdx=0 rIdx=3 oIdx=0 buffer=5 iui=0
_ds_load_u8 v71, v[vgprLocalReadAddrB] offset:3584 // L -> Reg lro=3456 swapByteOffset=0 ti=32 vIdx=1 rIdx=1 oIdx=0 buffer=5 iui=0
_ds_load_u8_d16_hi v72, v[vgprLocalReadAddrB] offset:3680 // L -> Reg lro=3456 swapByteOffset=0 ti=32 vIdx=1 rIdx=2 oIdx=0 buffer=5 iui=0
_ds_load_u8_d16_hi v73, v[vgprLocalReadAddrB] offset:3776 // L -> Reg lro=3456 swapByteOffset=0 ti=32 vIdx=1 rIdx=3 oIdx=0 buffer=5 iui=0
s_waitcnt lgkmcnt(10)                              // lgkmcnt=0 vmcnt=-1wait for prior local read local write old=0, new=7 newLW=1 newLR=6
/* pack scheduling: packAIdx:0, packBIdx:3 */
_v_lshl_or_b32 v[vgprValuB_X4_I0+0], v59, 0x8, v[vgprValuB_X4_I0+0] // pack two int8 Vgpr to one half Vgpr
_v_lshl_or_b32 v60, v61, 0x8, v60                  // pack two int8 Vgpr to one half Vgpr
v_or_b32 v[vgprValuB_X4_I0+0], v[vgprValuB_X4_I0+0], v60 // pack two half Vgpr to one Vgpr
_v_lshl_or_b32 v[vgprValuB_X4_I0+1], v62, 0x8, v[vgprValuB_X4_I0+1] // pack two int8 Vgpr to one half Vgpr
_v_lshl_or_b32 v63, v64, 0x8, v63                  // pack two int8 Vgpr to one half Vgpr
v_or_b32 v[vgprValuB_X4_I0+1], v[vgprValuB_X4_I0+1], v63 // pack two half Vgpr to one Vgpr
v_mfma_i32_32x32x8i8 a[0+0:15+0], v[vgprValuA_X4_I0+0+0+0], v[vgprValuB_X4_I0+0+0+0], a[0:15]
/*  mfmaIndex:13  */
_ds_load_u8 v74, v[vgprLocalReadAddrB] offset:3616 // L -> Reg lro=3456 swapByteOffset=0 ti=32 vIdx=2 rIdx=1 oIdx=0 buffer=5 iui=0
_ds_load_u8_d16_hi v75, v[vgprLocalReadAddrB] offset:3712 // L -> Reg lro=3456 swapByteOffset=0 ti=32 vIdx=2 rIdx=2 oIdx=0 buffer=5 iui=0
_ds_load_u8_d16_hi v76, v[vgprLocalReadAddrB] offset:3808 // L -> Reg lro=3456 swapByteOffset=0 ti=32 vIdx=2 rIdx=3 oIdx=0 buffer=5 iui=0
/* localReadsVacancy: latencyLeft 7 */
_ds_load_u8 v[vgprValuB_X7_I0+1], v[vgprLocalReadAddrB] offset:4256 // L -> Reg lro=4224 swapByteOffset=0 ti=32 vIdx=1 rIdx=0 oIdx=0 buffer=7 iui=0
_ds_load_u8 v[vgprValuB_X7_I0+2], v[vgprLocalReadAddrB] offset:4288 // L -> Reg lro=4224 swapByteOffset=0 ti=32 vIdx=2 rIdx=0 oIdx=0 buffer=7 iui=0
/* pack scheduling: packAIdx:0, packBIdx:6 */
_v_lshl_or_b32 v[vgprValuB_X4_I0+2], v65, 0x8, v[vgprValuB_X4_I0+2] // pack two int8 Vgpr to one half Vgpr
_v_lshl_or_b32 v66, v67, 0x8, v66                  // pack two int8 Vgpr to one half Vgpr
v_or_b32 v[vgprValuB_X4_I0+2], v[vgprValuB_X4_I0+2], v66 // pack two half Vgpr to one Vgpr
v_mfma_i32_32x32x8i8 a[16+0:31+0], v[vgprValuA_X4_I0+0+0+0], v[vgprValuB_X4_I0+1+0+0], a[16:31]
/*  mfmaIndex:14  */
/* localReadsVacancy: latencyLeft 7 */
/* sched write - iter 4 writesPerItem=1 */
s_waitcnt vmcnt(0)                                 // lgkmcnt=-1 vmcnt=0wait for global read before writing to local
_ds_store_b64 v[vgprLocalWriteAddrB], v[vgprG2LB+0:vgprG2LB+0+1] offset:0 // lwoB_0_0_0_0 = (0*LSCB) + (0*LSPB)(*MT1J+PAD) = 0
v_mfma_i32_32x32x8i8 a[32+0:47+0], v[vgprValuA_X4_I0+0+0+0], v[vgprValuB_X4_I0+2+0+0], a[32:47]
/* numPrefetchIter=0 */
/* dataAtIterA=0 numReadsIterA=1 skipReadsIterA=0 readsPerIterA=1 */
/* dataAtIterB=3 numReadsIterB=5 skipReadsIterB=1 readsPerIterB=12 */


/* iter 5 */

/*  grEndMfmaIndex:2, lwStartMfmaIndex:4, lwEndMfmaIndex:20  */
/*  numMfmaForLR:2, barrierMfmaIndex:21, LocalWritePerMfma:0.395 */
/*  mfmaIndex:15  */
_ds_load_u8 v59, v[vgprLocalReadAddrB] offset:3936 // L -> Reg lro=3840 swapByteOffset=0 ti=32 vIdx=0 rIdx=1 oIdx=0 buffer=6 iui=0
_ds_load_u8_d16_hi v60, v[vgprLocalReadAddrB] offset:4032 // L -> Reg lro=3840 swapByteOffset=0 ti=32 vIdx=0 rIdx=2 oIdx=0 buffer=6 iui=0
_ds_load_u8_d16_hi v61, v[vgprLocalReadAddrB] offset:4128 // L -> Reg lro=3840 swapByteOffset=0 ti=32 vIdx=0 rIdx=3 oIdx=0 buffer=6 iui=0
_ds_load_u8 v62, v[vgprLocalReadAddrB] offset:3968 // L -> Reg lro=3840 swapByteOffset=0 ti=32 vIdx=1 rIdx=1 oIdx=0 buffer=6 iui=0
_ds_load_u8_d16_hi v63, v[vgprLocalReadAddrB] offset:4064 // L -> Reg lro=3840 swapByteOffset=0 ti=32 vIdx=1 rIdx=2 oIdx=0 buffer=6 iui=0
_ds_load_u8_d16_hi v64, v[vgprLocalReadAddrB] offset:4160 // L -> Reg lro=3840 swapByteOffset=0 ti=32 vIdx=1 rIdx=3 oIdx=0 buffer=6 iui=0
s_waitcnt lgkmcnt(9)                               // lgkmcnt=0 vmcnt=-1wait for prior local read local write old=0, new=7 newLW=1 newLR=6
/* pack scheduling: packAIdx:0, packBIdx:3 */
_v_lshl_or_b32 v[vgprValuB_X5_I0+0], v68, 0x8, v[vgprValuB_X5_I0+0] // pack two int8 Vgpr to one half Vgpr
_v_lshl_or_b32 v69, v70, 0x8, v69                  // pack two int8 Vgpr to one half Vgpr
v_or_b32 v[vgprValuB_X5_I0+0], v[vgprValuB_X5_I0+0], v69 // pack two half Vgpr to one Vgpr
_v_lshl_or_b32 v[vgprValuB_X5_I0+1], v71, 0x8, v[vgprValuB_X5_I0+1] // pack two int8 Vgpr to one half Vgpr
_v_lshl_or_b32 v72, v73, 0x8, v72                  // pack two int8 Vgpr to one half Vgpr
v_or_b32 v[vgprValuB_X5_I0+1], v[vgprValuB_X5_I0+1], v72 // pack two half Vgpr to one Vgpr
v_mfma_i32_32x32x8i8 a[0+0:15+0], v[vgprValuA_X4_I0+0+1+0], v[vgprValuB_X5_I0+0+0+0], a[0:15]
/*  mfmaIndex:16  */
_ds_load_u8 v65, v[vgprLocalReadAddrB] offset:4000 // L -> Reg lro=3840 swapByteOffset=0 ti=32 vIdx=2 rIdx=1 oIdx=0 buffer=6 iui=0
_ds_load_u8_d16_hi v66, v[vgprLocalReadAddrB] offset:4096 // L -> Reg lro=3840 swapByteOffset=0 ti=32 vIdx=2 rIdx=2 oIdx=0 buffer=6 iui=0
_ds_load_u8_d16_hi v67, v[vgprLocalReadAddrB] offset:4192 // L -> Reg lro=3840 swapByteOffset=0 ti=32 vIdx=2 rIdx=3 oIdx=0 buffer=6 iui=0
/* localReadsVacancy: latencyLeft 1 */
/* sched write - iter 5 writesPerItem=1 */
s_waitcnt vmcnt(0)                                 // lgkmcnt=-1 vmcnt=0wait for global read before writing to local
_ds_store_b64 v[vgprLocalWriteAddrB], v[vgprG2LB+2:vgprG2LB+2+1] offset:32 // lwoB_1_0_0_0 = (1*LSCB) + (0*LSPB)(*MT1J+PAD) = 32
/* pack scheduling: packAIdx:0, packBIdx:6 */
_v_lshl_or_b32 v[vgprValuB_X5_I0+2], v74, 0x8, v[vgprValuB_X5_I0+2] // pack two int8 Vgpr to one half Vgpr
_v_lshl_or_b32 v75, v76, 0x8, v75                  // pack two int8 Vgpr to one half Vgpr
v_or_b32 v[vgprValuB_X5_I0+2], v[vgprValuB_X5_I0+2], v75 // pack two half Vgpr to one Vgpr
v_mfma_i32_32x32x8i8 a[16+0:31+0], v[vgprValuA_X4_I0+0+1+0], v[vgprValuB_X5_I0+1+0+0], a[16:31]
/*  mfmaIndex:17  */
/* localReadsVacancy: latencyLeft 13 */
v_mfma_i32_32x32x8i8 a[32+0:47+0], v[vgprValuA_X4_I0+0+1+0], v[vgprValuB_X5_I0+2+0+0], a[32:47]
/* numPrefetchIter=0 */
/* dataAtIterA=0 numReadsIterA=1 skipReadsIterA=0 readsPerIterA=1 */
/* dataAtIterB=4 numReadsIterB=6 skipReadsIterB=1 readsPerIterB=12 */


/* iter 6 (reset local read pointers iteration)  (swap and reset local write pointers iteration)  (swap local read pointers iteration)  */

/*  grEndMfmaIndex:2, lwStartMfmaIndex:4, lwEndMfmaIndex:20  */
/*  numMfmaForLR:2, barrierMfmaIndex:21, LocalWritePerMfma:0.395 */
/*  mfmaIndex:18  */
_ds_load_u8 v68, v[vgprLocalReadAddrB] offset:4320 // L -> Reg lro=4224 swapByteOffset=0 ti=32 vIdx=0 rIdx=1 oIdx=0 buffer=7 iui=0
_ds_load_u8_d16_hi v69, v[vgprLocalReadAddrB] offset:4416 // L -> Reg lro=4224 swapByteOffset=0 ti=32 vIdx=0 rIdx=2 oIdx=0 buffer=7 iui=0
_ds_load_u8_d16_hi v70, v[vgprLocalReadAddrB] offset:4512 // L -> Reg lro=4224 swapByteOffset=0 ti=32 vIdx=0 rIdx=3 oIdx=0 buffer=7 iui=0
_ds_load_u8 v71, v[vgprLocalReadAddrB] offset:4352 // L -> Reg lro=4224 swapByteOffset=0 ti=32 vIdx=1 rIdx=1 oIdx=0 buffer=7 iui=0
_ds_load_u8_d16_hi v72, v[vgprLocalReadAddrB] offset:4448 // L -> Reg lro=4224 swapByteOffset=0 ti=32 vIdx=1 rIdx=2 oIdx=0 buffer=7 iui=0
_ds_load_u8_d16_hi v73, v[vgprLocalReadAddrB] offset:4544 // L -> Reg lro=4224 swapByteOffset=0 ti=32 vIdx=1 rIdx=3 oIdx=0 buffer=7 iui=0
s_waitcnt lgkmcnt(7)                               // lgkmcnt=0 vmcnt=-1wait for prior local read local write old=0, new=7 newLW=1 newLR=6
/* pack scheduling: packAIdx:0, packBIdx:3 */
_v_lshl_or_b32 v[vgprValuB_X6_I0+0], v59, 0x8, v[vgprValuB_X6_I0+0] // pack two int8 Vgpr to one half Vgpr
_v_lshl_or_b32 v60, v61, 0x8, v60                  // pack two int8 Vgpr to one half Vgpr
v_or_b32 v[vgprValuB_X6_I0+0], v[vgprValuB_X6_I0+0], v60 // pack two half Vgpr to one Vgpr
_v_lshl_or_b32 v[vgprValuB_X6_I0+1], v62, 0x8, v[vgprValuB_X6_I0+1] // pack two int8 Vgpr to one half Vgpr
_v_lshl_or_b32 v63, v64, 0x8, v63                  // pack two int8 Vgpr to one half Vgpr
v_or_b32 v[vgprValuB_X6_I0+1], v[vgprValuB_X6_I0+1], v63 // pack two half Vgpr to one Vgpr
v_mfma_i32_32x32x8i8 a[0+0:15+0], v[vgprValuA_X4_I0+0+2+0], v[vgprValuB_X6_I0+0+0+0], a[0:15]
/*  mfmaIndex:19  */
_ds_load_u8 v74, v[vgprLocalReadAddrB] offset:4384 // L -> Reg lro=4224 swapByteOffset=0 ti=32 vIdx=2 rIdx=1 oIdx=0 buffer=7 iui=0
_ds_load_u8_d16_hi v75, v[vgprLocalReadAddrB] offset:4480 // L -> Reg lro=4224 swapByteOffset=0 ti=32 vIdx=2 rIdx=2 oIdx=0 buffer=7 iui=0
_ds_load_u8_d16_hi v76, v[vgprLocalReadAddrB] offset:4576 // L -> Reg lro=4224 swapByteOffset=0 ti=32 vIdx=2 rIdx=3 oIdx=0 buffer=7 iui=0
/* localReadsVacancy: latencyLeft 1 */
/* sched write - iter 6 writesPerItem=1 */
s_waitcnt vmcnt(0)                                 // lgkmcnt=-1 vmcnt=0wait for global read before writing to local
_ds_store_b64 v[vgprLocalWriteAddrB], v[vgprG2LB+4:vgprG2LB+4+1] offset:64 // lwoB_2_0_0_0 = (2*LSCB) + (0*LSPB)(*MT1J+PAD) = 64
/* pack scheduling: packAIdx:0, packBIdx:6 */
_v_lshl_or_b32 v[vgprValuB_X6_I0+2], v65, 0x8, v[vgprValuB_X6_I0+2] // pack two int8 Vgpr to one half Vgpr
_v_lshl_or_b32 v66, v67, 0x8, v66                  // pack two int8 Vgpr to one half Vgpr
v_or_b32 v[vgprValuB_X6_I0+2], v[vgprValuB_X6_I0+2], v66 // pack two half Vgpr to one Vgpr
v_mfma_i32_32x32x8i8 a[16+0:31+0], v[vgprValuA_X4_I0+0+2+0], v[vgprValuB_X6_I0+1+0+0], a[16:31]
/*  mfmaIndex:20  */
/* localReadsVacancy: latencyLeft 13 */

/* local write swap offsets a */
v_xor_b32 v[vgprLocalWriteAddrA+0], 0x4000, v[vgprLocalWriteAddrA+0] // swap Red Blk

/* local write swap offsets b */
v_xor_b32 v[vgprLocalWriteAddrB+0], 0x4000, v[vgprLocalWriteAddrB+0] // swap Red Blk

/* local read swap offsets a */
v_xor_b32 v[vgprLocalReadAddrA], 0x4000, v[vgprLocalReadAddrA] // swap Red Blk

/* local read swap offsets b */
v_xor_b32 v[vgprLocalReadAddrB], 0x4000, v[vgprLocalReadAddrB] // swap Red Blk

/* local read init pointers a */

/* localReadInitPointers */

/* local read init pointers b */

/* localReadInitPointers */
v_mfma_i32_32x32x8i8 a[32+0:47+0], v[vgprValuA_X4_I0+0+2+0], v[vgprValuB_X6_I0+2+0+0], a[32:47]
/* numPrefetchIter=0 */
/* dataAtIterA=0 numReadsIterA=1 skipReadsIterA=0 readsPerIterA=1 */
/* dataAtIterB=5 numReadsIterB=7 skipReadsIterB=1 readsPerIterB=12 */


/* iter 7 */

/*  grEndMfmaIndex:2, lwStartMfmaIndex:4, lwEndMfmaIndex:20  */
/*  numMfmaForLR:2, barrierMfmaIndex:21, LocalWritePerMfma:0.395 */
/*  mfmaIndex:21  */
s_waitcnt lgkmcnt(0)                               // lgkmcnt=0 vmcnt=-13wait for local write
// Skip force waitcnt0
s_barrier //
s_waitcnt lgkmcnt(1)                               // lgkmcnt=0 vmcnt=-1wait for prior local read local write old=0, new=1 newLW=1 newLR=0
/* pack scheduling: packAIdx:0, packBIdx:3 */
_v_lshl_or_b32 v[vgprValuB_X7_I0+0], v68, 0x8, v[vgprValuB_X7_I0+0] // pack two int8 Vgpr to one half Vgpr
_v_lshl_or_b32 v69, v70, 0x8, v69                  // pack two int8 Vgpr to one half Vgpr
v_or_b32 v[vgprValuB_X7_I0+0], v[vgprValuB_X7_I0+0], v69 // pack two half Vgpr to one Vgpr
_v_lshl_or_b32 v[vgprValuB_X7_I0+1], v71, 0x8, v[vgprValuB_X7_I0+1] // pack two int8 Vgpr to one half Vgpr
_v_lshl_or_b32 v72, v73, 0x8, v72                  // pack two int8 Vgpr to one half Vgpr
v_or_b32 v[vgprValuB_X7_I0+1], v[vgprValuB_X7_I0+1], v72 // pack two half Vgpr to one Vgpr
v_mfma_i32_32x32x8i8 a[0+0:15+0], v[vgprValuA_X4_I0+0+3+0], v[vgprValuB_X7_I0+0+0+0], a[0:15]
/*  mfmaIndex:22  */
_ds_load_b128 v[vgprValuA_X0_I0+0:vgprValuA_X0_I0+0+3], v[vgprLocalReadAddrA] offset:0 // L -> Reg lro=0 swapByteOffset=0 ti=128 vIdx=0 rIdx=0 oIdx=0 buffer=0 iui=0
_ds_load_u8 v[vgprValuB_X0_I0+0], v[vgprLocalReadAddrB] offset:0 // L -> Reg lro=0 swapByteOffset=0 ti=32 vIdx=0 rIdx=0 oIdx=0 buffer=0 iui=0
_ds_load_u8 v59, v[vgprLocalReadAddrB] offset:96   // L -> Reg lro=0 swapByteOffset=0 ti=32 vIdx=0 rIdx=1 oIdx=0 buffer=0 iui=0
_ds_load_u8_d16_hi v60, v[vgprLocalReadAddrB] offset:192 // L -> Reg lro=0 swapByteOffset=0 ti=32 vIdx=0 rIdx=2 oIdx=0 buffer=0 iui=0
_ds_load_u8_d16_hi v61, v[vgprLocalReadAddrB] offset:288 // L -> Reg lro=0 swapByteOffset=0 ti=32 vIdx=0 rIdx=3 oIdx=0 buffer=0 iui=0
_ds_load_u8 v[vgprValuB_X0_I0+1], v[vgprLocalReadAddrB] offset:32 // L -> Reg lro=0 swapByteOffset=0 ti=32 vIdx=1 rIdx=0 oIdx=0 buffer=0 iui=0
_ds_load_u8 v62, v[vgprLocalReadAddrB] offset:128  // L -> Reg lro=0 swapByteOffset=0 ti=32 vIdx=1 rIdx=1 oIdx=0 buffer=0 iui=0
/* pack scheduling: packAIdx:0, packBIdx:6 */
_v_lshl_or_b32 v[vgprValuB_X7_I0+2], v74, 0x8, v[vgprValuB_X7_I0+2] // pack two int8 Vgpr to one half Vgpr
_v_lshl_or_b32 v75, v76, 0x8, v75                  // pack two int8 Vgpr to one half Vgpr
v_or_b32 v[vgprValuB_X7_I0+2], v[vgprValuB_X7_I0+2], v75 // pack two half Vgpr to one Vgpr
v_mfma_i32_32x32x8i8 a[16+0:31+0], v[vgprValuA_X4_I0+0+3+0], v[vgprValuB_X7_I0+1+0+0], a[16:31]
/*  mfmaIndex:23  */
_ds_load_u8_d16_hi v63, v[vgprLocalReadAddrB] offset:224 // L -> Reg lro=0 swapByteOffset=0 ti=32 vIdx=1 rIdx=2 oIdx=0 buffer=0 iui=0
_ds_load_u8_d16_hi v64, v[vgprLocalReadAddrB] offset:320 // L -> Reg lro=0 swapByteOffset=0 ti=32 vIdx=1 rIdx=3 oIdx=0 buffer=0 iui=0
_ds_load_u8 v[vgprValuB_X0_I0+2], v[vgprLocalReadAddrB] offset:64 // L -> Reg lro=0 swapByteOffset=0 ti=32 vIdx=2 rIdx=0 oIdx=0 buffer=0 iui=0
_ds_load_u8 v65, v[vgprLocalReadAddrB] offset:160  // L -> Reg lro=0 swapByteOffset=0 ti=32 vIdx=2 rIdx=1 oIdx=0 buffer=0 iui=0
_ds_load_u8_d16_hi v66, v[vgprLocalReadAddrB] offset:256 // L -> Reg lro=0 swapByteOffset=0 ti=32 vIdx=2 rIdx=2 oIdx=0 buffer=0 iui=0
_ds_load_u8_d16_hi v67, v[vgprLocalReadAddrB] offset:352 // L -> Reg lro=0 swapByteOffset=0 ti=32 vIdx=2 rIdx=3 oIdx=0 buffer=0 iui=0
v_mfma_i32_32x32x8i8 a[32+0:47+0], v[vgprValuA_X4_I0+0+3+0], v[vgprValuB_X7_I0+2+0+0], a[32:47]
/* numPrefetchIter=1 */
/* dataAtIterA=0 numReadsIterA=1 skipReadsIterA=1 readsPerIterA=1 */
/* dataAtIterB=6 numReadsIterB=7 skipReadsIterB=1 readsPerIterB=12 */

label_0014:


/******************************************/
/* Opt. NoLoadLoop Without PAP - Begin                                      */
/******************************************/

s_cmpk_eq_u32 s[sgprBeta], 0x0                     // Beta == 0
s_cbranch_scc0 OptNLL_End_16                       // Branch if Beta is not zero

s_cmp_eq_u32 s[sgprAlpha], 1                       // Alpha == 1.0 ?
s_cbranch_scc0 OptNLL_End_16                       // branch if alpha != 1

s_and_b32 s32, 127, s[sgprSizeI]                   // s32 = s[sgprSizeI] % 128
s_add_u32 s33, -0x1, s[sgprNumWorkGroups0]         // 
s_cmp_ge_u32 s[sgprWorkGroup0], s33                // wg0 >= nwg0-1 ?
s_cselect_b32 s32, s32, 0                          // set rMT0
s_cmpk_gt_u32 s32, 0x0                             // rMT0 > 0
s_cbranch_scc1 OptNLL_End_16                       // jump if edges required
s_mov_b32 s35, 0x0                                 // STATIC_DIV: divisior=96
s_mul_i32 s34, 0x555, s[sgprSizeJ]                 // tmp1 = dividend * magic hi
s_lshl_b64 s[34:35], s[34:35], 0x10                // left shift 16 bits
s_mul_i32 s33, s[sgprSizeJ], 0x5556                // tmp0 = dividend * magic lo
s_add_u32 s34, s33, s34                            // add lo
s_addc_u32 s35, s35, 0x0                           // add hi
s_lshr_b64 s[34:35], s[34:35], 0x21                // tmp1 = (dividend * magic) << shift
s_mov_b32 s33, s34                                 // quotient
s_mul_i32 s34, s33, 0x60                           // quotient*divisor
s_sub_u32 s32, s[sgprSizeJ], s34                   // rReg = dividend - quotient*divisor
s_add_u32 s33, -0x1, s[sgprNumWorkGroups1]         // 
s_cmp_ge_u32 s[sgprWorkGroup1], s33                // wg1 >= nwg1-1
s_cselect_b32 s32, s32, 0                          // set rMT1
s_cmpk_gt_u32 s32, 0x0                             // rMT1 > 0
s_cbranch_scc1 OptNLL_End_16                       // jump if edges required

s_and_b32 s33, 63, s[sgprSizesSum+0]               // s33 = s[sgprSizesSum+0] % 64
s_cmp_eq_u32 s33, 0x0                              // numIterL == 0
s_cbranch_scc0 OptNLL_End_16                       // skip if tail loop required


	;; [unrolled: 1-line block ×3, first 2 shown]
/* iter 0 (last unrolled loop) */

/*  grEndMfmaIndex:0, lwStartMfmaIndex:20, lwEndMfmaIndex:20  */
/*  numMfmaForLR:2, barrierMfmaIndex:21, LocalWritePerMfma:0.395 */
/*  mfmaIndex:0  */
s_waitcnt lgkmcnt(0)                               // lgkmcnt=0 vmcnt=-1wait for prior local read local write old=0, new=0 newLW=0 newLR=0
/* pack scheduling: packAIdx:0, packBIdx:3 */
_v_lshl_or_b32 v[vgprValuB_X0_I0+0], v59, 0x8, v[vgprValuB_X0_I0+0] // pack two int8 Vgpr to one half Vgpr
_v_lshl_or_b32 v60, v61, 0x8, v60                  // pack two int8 Vgpr to one half Vgpr
v_or_b32 v[vgprValuB_X0_I0+0], v[vgprValuB_X0_I0+0], v60 // pack two half Vgpr to one Vgpr
_v_lshl_or_b32 v[vgprValuB_X0_I0+1], v62, 0x8, v[vgprValuB_X0_I0+1] // pack two int8 Vgpr to one half Vgpr
_v_lshl_or_b32 v63, v64, 0x8, v63                  // pack two int8 Vgpr to one half Vgpr
v_or_b32 v[vgprValuB_X0_I0+1], v[vgprValuB_X0_I0+1], v63 // pack two half Vgpr to one Vgpr
v_mfma_i32_32x32x8i8 a[0+0:15+0], v[vgprValuA_X0_I0+0+0+0], v[vgprValuB_X0_I0+0+0+0], a[0:15]
/*  mfmaIndex:1  */
_ds_load_b128 v[vgprValuA_X4_I0+0:vgprValuA_X4_I0+0+3], v[vgprLocalReadAddrA] offset:32 // L -> Reg lro=32 swapByteOffset=0 ti=128 vIdx=0 rIdx=0 oIdx=0 buffer=4 iui=0
_ds_load_u8 v[vgprValuB_X1_I0+0], v[vgprLocalReadAddrB] offset:384 // L -> Reg lro=384 swapByteOffset=0 ti=32 vIdx=0 rIdx=0 oIdx=0 buffer=1 iui=0
_ds_load_u8 v68, v[vgprLocalReadAddrB] offset:480  // L -> Reg lro=384 swapByteOffset=0 ti=32 vIdx=0 rIdx=1 oIdx=0 buffer=1 iui=0
_ds_load_u8_d16_hi v69, v[vgprLocalReadAddrB] offset:576 // L -> Reg lro=384 swapByteOffset=0 ti=32 vIdx=0 rIdx=2 oIdx=0 buffer=1 iui=0
_ds_load_u8_d16_hi v70, v[vgprLocalReadAddrB] offset:672 // L -> Reg lro=384 swapByteOffset=0 ti=32 vIdx=0 rIdx=3 oIdx=0 buffer=1 iui=0
_ds_load_u8 v[vgprValuB_X1_I0+1], v[vgprLocalReadAddrB] offset:416 // L -> Reg lro=384 swapByteOffset=0 ti=32 vIdx=1 rIdx=0 oIdx=0 buffer=1 iui=0
_ds_load_u8 v71, v[vgprLocalReadAddrB] offset:512  // L -> Reg lro=384 swapByteOffset=0 ti=32 vIdx=1 rIdx=1 oIdx=0 buffer=1 iui=0
/* pack scheduling: packAIdx:0, packBIdx:6 */
_v_lshl_or_b32 v[vgprValuB_X0_I0+2], v65, 0x8, v[vgprValuB_X0_I0+2] // pack two int8 Vgpr to one half Vgpr
_v_lshl_or_b32 v66, v67, 0x8, v66                  // pack two int8 Vgpr to one half Vgpr
v_or_b32 v[vgprValuB_X0_I0+2], v[vgprValuB_X0_I0+2], v66 // pack two half Vgpr to one Vgpr
v_mfma_i32_32x32x8i8 a[16+0:31+0], v[vgprValuA_X0_I0+0+0+0], v[vgprValuB_X0_I0+1+0+0], a[16:31]
/*  mfmaIndex:2  */
_ds_load_u8_d16_hi v72, v[vgprLocalReadAddrB] offset:608 // L -> Reg lro=384 swapByteOffset=0 ti=32 vIdx=1 rIdx=2 oIdx=0 buffer=1 iui=0
_ds_load_u8_d16_hi v73, v[vgprLocalReadAddrB] offset:704 // L -> Reg lro=384 swapByteOffset=0 ti=32 vIdx=1 rIdx=3 oIdx=0 buffer=1 iui=0
_ds_load_u8 v[vgprValuB_X1_I0+2], v[vgprLocalReadAddrB] offset:448 // L -> Reg lro=384 swapByteOffset=0 ti=32 vIdx=2 rIdx=0 oIdx=0 buffer=1 iui=0
_ds_load_u8 v74, v[vgprLocalReadAddrB] offset:544  // L -> Reg lro=384 swapByteOffset=0 ti=32 vIdx=2 rIdx=1 oIdx=0 buffer=1 iui=0
_ds_load_u8_d16_hi v75, v[vgprLocalReadAddrB] offset:640 // L -> Reg lro=384 swapByteOffset=0 ti=32 vIdx=2 rIdx=2 oIdx=0 buffer=1 iui=0
_ds_load_u8_d16_hi v76, v[vgprLocalReadAddrB] offset:736 // L -> Reg lro=384 swapByteOffset=0 ti=32 vIdx=2 rIdx=3 oIdx=0 buffer=1 iui=0
/* localReadsVacancy: latencyLeft 1 */
v_mfma_i32_32x32x8i8 a[32+0:47+0], v[vgprValuA_X0_I0+0+0+0], v[vgprValuB_X0_I0+2+0+0], a[32:47]
/* numPrefetchIter=0 */
/* dataAtIterA=-1 numReadsIterA=1 skipReadsIterA=1 readsPerIterA=1 */
/* dataAtIterB=-1 numReadsIterB=1 skipReadsIterB=1 readsPerIterB=12 */


/* iter 1 (last unrolled loop) */

/*  grEndMfmaIndex:0, lwStartMfmaIndex:20, lwEndMfmaIndex:20  */
/*  numMfmaForLR:2, barrierMfmaIndex:21, LocalWritePerMfma:0.395 */
/*  mfmaIndex:3  */
_ds_load_u8 v[vgprValuB_X2_I0+0], v[vgprLocalReadAddrB] offset:768 // L -> Reg lro=768 swapByteOffset=0 ti=32 vIdx=0 rIdx=0 oIdx=0 buffer=2 iui=0
_ds_load_u8 v59, v[vgprLocalReadAddrB] offset:864  // L -> Reg lro=768 swapByteOffset=0 ti=32 vIdx=0 rIdx=1 oIdx=0 buffer=2 iui=0
_ds_load_u8_d16_hi v60, v[vgprLocalReadAddrB] offset:960 // L -> Reg lro=768 swapByteOffset=0 ti=32 vIdx=0 rIdx=2 oIdx=0 buffer=2 iui=0
_ds_load_u8_d16_hi v61, v[vgprLocalReadAddrB] offset:1056 // L -> Reg lro=768 swapByteOffset=0 ti=32 vIdx=0 rIdx=3 oIdx=0 buffer=2 iui=0
_ds_load_u8 v[vgprValuB_X2_I0+1], v[vgprLocalReadAddrB] offset:800 // L -> Reg lro=768 swapByteOffset=0 ti=32 vIdx=1 rIdx=0 oIdx=0 buffer=2 iui=0
_ds_load_u8 v62, v[vgprLocalReadAddrB] offset:896  // L -> Reg lro=768 swapByteOffset=0 ti=32 vIdx=1 rIdx=1 oIdx=0 buffer=2 iui=0
s_waitcnt lgkmcnt(6)                               // lgkmcnt=0 vmcnt=-1wait for prior local read local write old=0, new=6 newLW=0 newLR=6
/* pack scheduling: packAIdx:0, packBIdx:3 */
_v_lshl_or_b32 v[vgprValuB_X1_I0+0], v68, 0x8, v[vgprValuB_X1_I0+0] // pack two int8 Vgpr to one half Vgpr
_v_lshl_or_b32 v69, v70, 0x8, v69                  // pack two int8 Vgpr to one half Vgpr
v_or_b32 v[vgprValuB_X1_I0+0], v[vgprValuB_X1_I0+0], v69 // pack two half Vgpr to one Vgpr
_v_lshl_or_b32 v[vgprValuB_X1_I0+1], v71, 0x8, v[vgprValuB_X1_I0+1] // pack two int8 Vgpr to one half Vgpr
_v_lshl_or_b32 v72, v73, 0x8, v72                  // pack two int8 Vgpr to one half Vgpr
v_or_b32 v[vgprValuB_X1_I0+1], v[vgprValuB_X1_I0+1], v72 // pack two half Vgpr to one Vgpr
v_mfma_i32_32x32x8i8 a[0+0:15+0], v[vgprValuA_X0_I0+0+1+0], v[vgprValuB_X1_I0+0+0+0], a[0:15]
/*  mfmaIndex:4  */
_ds_load_u8_d16_hi v63, v[vgprLocalReadAddrB] offset:992 // L -> Reg lro=768 swapByteOffset=0 ti=32 vIdx=1 rIdx=2 oIdx=0 buffer=2 iui=0
_ds_load_u8_d16_hi v64, v[vgprLocalReadAddrB] offset:1088 // L -> Reg lro=768 swapByteOffset=0 ti=32 vIdx=1 rIdx=3 oIdx=0 buffer=2 iui=0
_ds_load_u8 v[vgprValuB_X2_I0+2], v[vgprLocalReadAddrB] offset:832 // L -> Reg lro=768 swapByteOffset=0 ti=32 vIdx=2 rIdx=0 oIdx=0 buffer=2 iui=0
_ds_load_u8 v65, v[vgprLocalReadAddrB] offset:928  // L -> Reg lro=768 swapByteOffset=0 ti=32 vIdx=2 rIdx=1 oIdx=0 buffer=2 iui=0
_ds_load_u8_d16_hi v66, v[vgprLocalReadAddrB] offset:1024 // L -> Reg lro=768 swapByteOffset=0 ti=32 vIdx=2 rIdx=2 oIdx=0 buffer=2 iui=0
_ds_load_u8_d16_hi v67, v[vgprLocalReadAddrB] offset:1120 // L -> Reg lro=768 swapByteOffset=0 ti=32 vIdx=2 rIdx=3 oIdx=0 buffer=2 iui=0
/* localReadsVacancy: latencyLeft 1 */
/* pack scheduling: packAIdx:0, packBIdx:6 */
_v_lshl_or_b32 v[vgprValuB_X1_I0+2], v74, 0x8, v[vgprValuB_X1_I0+2] // pack two int8 Vgpr to one half Vgpr
_v_lshl_or_b32 v75, v76, 0x8, v75                  // pack two int8 Vgpr to one half Vgpr
v_or_b32 v[vgprValuB_X1_I0+2], v[vgprValuB_X1_I0+2], v75 // pack two half Vgpr to one Vgpr
v_mfma_i32_32x32x8i8 a[16+0:31+0], v[vgprValuA_X0_I0+0+1+0], v[vgprValuB_X1_I0+1+0+0], a[16:31]
/*  mfmaIndex:5  */
/* localReadsVacancy: latencyLeft 13 */
_ds_load_u8 v[vgprValuB_X3_I0+0], v[vgprLocalReadAddrB] offset:1152 // L -> Reg lro=1152 swapByteOffset=0 ti=32 vIdx=0 rIdx=0 oIdx=0 buffer=3 iui=0
_ds_load_u8 v[vgprValuB_X3_I0+1], v[vgprLocalReadAddrB] offset:1184 // L -> Reg lro=1152 swapByteOffset=0 ti=32 vIdx=1 rIdx=0 oIdx=0 buffer=3 iui=0
	;; [unrolled: 1-line block ×3, first 2 shown]
_ds_load_u8 v[vgprValuB_X4_I0+0], v[vgprLocalReadAddrB] offset:3072 // L -> Reg lro=3072 swapByteOffset=0 ti=32 vIdx=0 rIdx=0 oIdx=0 buffer=4 iui=0
_ds_load_u8 v[vgprValuB_X4_I0+1], v[vgprLocalReadAddrB] offset:3104 // L -> Reg lro=3072 swapByteOffset=0 ti=32 vIdx=1 rIdx=0 oIdx=0 buffer=4 iui=0
_ds_load_u8 v[vgprValuB_X4_I0+2], v[vgprLocalReadAddrB] offset:3136 // L -> Reg lro=3072 swapByteOffset=0 ti=32 vIdx=2 rIdx=0 oIdx=0 buffer=4 iui=0
v_mfma_i32_32x32x8i8 a[32+0:47+0], v[vgprValuA_X0_I0+0+1+0], v[vgprValuB_X1_I0+2+0+0], a[32:47]
/* numPrefetchIter=0 */
/* dataAtIterA=-1 numReadsIterA=1 skipReadsIterA=0 readsPerIterA=1 */
/* dataAtIterB=0 numReadsIterB=2 skipReadsIterB=1 readsPerIterB=12 */


/* iter 2 (last unrolled loop) */

/*  grEndMfmaIndex:0, lwStartMfmaIndex:20, lwEndMfmaIndex:20  */
/*  numMfmaForLR:2, barrierMfmaIndex:21, LocalWritePerMfma:0.395 */
/*  mfmaIndex:6  */
_ds_load_u8 v68, v[vgprLocalReadAddrB] offset:1248 // L -> Reg lro=1152 swapByteOffset=0 ti=32 vIdx=0 rIdx=1 oIdx=0 buffer=3 iui=0
_ds_load_u8_d16_hi v69, v[vgprLocalReadAddrB] offset:1344 // L -> Reg lro=1152 swapByteOffset=0 ti=32 vIdx=0 rIdx=2 oIdx=0 buffer=3 iui=0
_ds_load_u8_d16_hi v70, v[vgprLocalReadAddrB] offset:1440 // L -> Reg lro=1152 swapByteOffset=0 ti=32 vIdx=0 rIdx=3 oIdx=0 buffer=3 iui=0
_ds_load_u8 v71, v[vgprLocalReadAddrB] offset:1280 // L -> Reg lro=1152 swapByteOffset=0 ti=32 vIdx=1 rIdx=1 oIdx=0 buffer=3 iui=0
_ds_load_u8_d16_hi v72, v[vgprLocalReadAddrB] offset:1376 // L -> Reg lro=1152 swapByteOffset=0 ti=32 vIdx=1 rIdx=2 oIdx=0 buffer=3 iui=0
_ds_load_u8_d16_hi v73, v[vgprLocalReadAddrB] offset:1472 // L -> Reg lro=1152 swapByteOffset=0 ti=32 vIdx=1 rIdx=3 oIdx=0 buffer=3 iui=0
s_waitcnt lgkmcnt(12)                              // lgkmcnt=0 vmcnt=-1wait for prior local read local write old=3, new=9 newLW=0 newLR=6
/* pack scheduling: packAIdx:0, packBIdx:3 */
_v_lshl_or_b32 v[vgprValuB_X2_I0+0], v59, 0x8, v[vgprValuB_X2_I0+0] // pack two int8 Vgpr to one half Vgpr
_v_lshl_or_b32 v60, v61, 0x8, v60                  // pack two int8 Vgpr to one half Vgpr
v_or_b32 v[vgprValuB_X2_I0+0], v[vgprValuB_X2_I0+0], v60 // pack two half Vgpr to one Vgpr
_v_lshl_or_b32 v[vgprValuB_X2_I0+1], v62, 0x8, v[vgprValuB_X2_I0+1] // pack two int8 Vgpr to one half Vgpr
_v_lshl_or_b32 v63, v64, 0x8, v63                  // pack two int8 Vgpr to one half Vgpr
v_or_b32 v[vgprValuB_X2_I0+1], v[vgprValuB_X2_I0+1], v63 // pack two half Vgpr to one Vgpr
v_mfma_i32_32x32x8i8 a[0+0:15+0], v[vgprValuA_X0_I0+0+2+0], v[vgprValuB_X2_I0+0+0+0], a[0:15]
/*  mfmaIndex:7  */
_ds_load_u8 v74, v[vgprLocalReadAddrB] offset:1312 // L -> Reg lro=1152 swapByteOffset=0 ti=32 vIdx=2 rIdx=1 oIdx=0 buffer=3 iui=0
_ds_load_u8_d16_hi v75, v[vgprLocalReadAddrB] offset:1408 // L -> Reg lro=1152 swapByteOffset=0 ti=32 vIdx=2 rIdx=2 oIdx=0 buffer=3 iui=0
_ds_load_u8_d16_hi v76, v[vgprLocalReadAddrB] offset:1504 // L -> Reg lro=1152 swapByteOffset=0 ti=32 vIdx=2 rIdx=3 oIdx=0 buffer=3 iui=0
/* localReadsVacancy: latencyLeft 7 */
_ds_load_u8 v[vgprValuB_X5_I0+0], v[vgprLocalReadAddrB] offset:3456 // L -> Reg lro=3456 swapByteOffset=0 ti=32 vIdx=0 rIdx=0 oIdx=0 buffer=5 iui=0
_ds_load_u8 v[vgprValuB_X5_I0+1], v[vgprLocalReadAddrB] offset:3488 // L -> Reg lro=3456 swapByteOffset=0 ti=32 vIdx=1 rIdx=0 oIdx=0 buffer=5 iui=0
	;; [unrolled: 1-line block ×3, first 2 shown]
/* pack scheduling: packAIdx:0, packBIdx:6 */
_v_lshl_or_b32 v[vgprValuB_X2_I0+2], v65, 0x8, v[vgprValuB_X2_I0+2] // pack two int8 Vgpr to one half Vgpr
_v_lshl_or_b32 v66, v67, 0x8, v66                  // pack two int8 Vgpr to one half Vgpr
v_or_b32 v[vgprValuB_X2_I0+2], v[vgprValuB_X2_I0+2], v66 // pack two half Vgpr to one Vgpr
v_mfma_i32_32x32x8i8 a[16+0:31+0], v[vgprValuA_X0_I0+0+2+0], v[vgprValuB_X2_I0+1+0+0], a[16:31]
/*  mfmaIndex:8  */
/* localReadsVacancy: latencyLeft 13 */
_ds_load_u8 v[vgprValuB_X6_I0+0], v[vgprLocalReadAddrB] offset:3840 // L -> Reg lro=3840 swapByteOffset=0 ti=32 vIdx=0 rIdx=0 oIdx=0 buffer=6 iui=0
_ds_load_u8 v[vgprValuB_X6_I0+1], v[vgprLocalReadAddrB] offset:3872 // L -> Reg lro=3840 swapByteOffset=0 ti=32 vIdx=1 rIdx=0 oIdx=0 buffer=6 iui=0
	;; [unrolled: 1-line block ×3, first 2 shown]
_ds_load_u8 v[vgprValuB_X7_I0+0], v[vgprLocalReadAddrB] offset:4224 // L -> Reg lro=4224 swapByteOffset=0 ti=32 vIdx=0 rIdx=0 oIdx=0 buffer=7 iui=0
_ds_load_u8 v[vgprValuB_X7_I0+1], v[vgprLocalReadAddrB] offset:4256 // L -> Reg lro=4224 swapByteOffset=0 ti=32 vIdx=1 rIdx=0 oIdx=0 buffer=7 iui=0
	;; [unrolled: 1-line block ×3, first 2 shown]
v_mfma_i32_32x32x8i8 a[32+0:47+0], v[vgprValuA_X0_I0+0+2+0], v[vgprValuB_X2_I0+2+0+0], a[32:47]
/* numPrefetchIter=0 */
/* dataAtIterA=-1 numReadsIterA=1 skipReadsIterA=0 readsPerIterA=1 */
/* dataAtIterB=1 numReadsIterB=3 skipReadsIterB=1 readsPerIterB=12 */


/* iter 3 (last unrolled loop) */

/*  grEndMfmaIndex:0, lwStartMfmaIndex:20, lwEndMfmaIndex:20  */
/*  numMfmaForLR:2, barrierMfmaIndex:21, LocalWritePerMfma:0.395 */
/*  mfmaIndex:9  */
_ds_load_u8 v59, v[vgprLocalReadAddrB] offset:3168 // L -> Reg lro=3072 swapByteOffset=0 ti=32 vIdx=0 rIdx=1 oIdx=0 buffer=4 iui=0
_ds_load_u8_d16_hi v60, v[vgprLocalReadAddrB] offset:3264 // L -> Reg lro=3072 swapByteOffset=0 ti=32 vIdx=0 rIdx=2 oIdx=0 buffer=4 iui=0
_ds_load_u8_d16_hi v61, v[vgprLocalReadAddrB] offset:3360 // L -> Reg lro=3072 swapByteOffset=0 ti=32 vIdx=0 rIdx=3 oIdx=0 buffer=4 iui=0
_ds_load_u8 v62, v[vgprLocalReadAddrB] offset:3200 // L -> Reg lro=3072 swapByteOffset=0 ti=32 vIdx=1 rIdx=1 oIdx=0 buffer=4 iui=0
_ds_load_u8_d16_hi v63, v[vgprLocalReadAddrB] offset:3296 // L -> Reg lro=3072 swapByteOffset=0 ti=32 vIdx=1 rIdx=2 oIdx=0 buffer=4 iui=0
_ds_load_u8_d16_hi v64, v[vgprLocalReadAddrB] offset:3392 // L -> Reg lro=3072 swapByteOffset=0 ti=32 vIdx=1 rIdx=3 oIdx=0 buffer=4 iui=0
s_waitcnt lgkmcnt(15)                              // lgkmcnt=0 vmcnt=-1wait for prior local read local write old=0, new=6 newLW=0 newLR=6
/* pack scheduling: packAIdx:0, packBIdx:3 */
_v_lshl_or_b32 v[vgprValuB_X3_I0+0], v68, 0x8, v[vgprValuB_X3_I0+0] // pack two int8 Vgpr to one half Vgpr
_v_lshl_or_b32 v69, v70, 0x8, v69                  // pack two int8 Vgpr to one half Vgpr
v_or_b32 v[vgprValuB_X3_I0+0], v[vgprValuB_X3_I0+0], v69 // pack two half Vgpr to one Vgpr
_v_lshl_or_b32 v[vgprValuB_X3_I0+1], v71, 0x8, v[vgprValuB_X3_I0+1] // pack two int8 Vgpr to one half Vgpr
_v_lshl_or_b32 v72, v73, 0x8, v72                  // pack two int8 Vgpr to one half Vgpr
v_or_b32 v[vgprValuB_X3_I0+1], v[vgprValuB_X3_I0+1], v72 // pack two half Vgpr to one Vgpr
v_mfma_i32_32x32x8i8 a[0+0:15+0], v[vgprValuA_X0_I0+0+3+0], v[vgprValuB_X3_I0+0+0+0], a[0:15]
/*  mfmaIndex:10  */
_ds_load_u8 v65, v[vgprLocalReadAddrB] offset:3232 // L -> Reg lro=3072 swapByteOffset=0 ti=32 vIdx=2 rIdx=1 oIdx=0 buffer=4 iui=0
_ds_load_u8_d16_hi v66, v[vgprLocalReadAddrB] offset:3328 // L -> Reg lro=3072 swapByteOffset=0 ti=32 vIdx=2 rIdx=2 oIdx=0 buffer=4 iui=0
_ds_load_u8_d16_hi v67, v[vgprLocalReadAddrB] offset:3424 // L -> Reg lro=3072 swapByteOffset=0 ti=32 vIdx=2 rIdx=3 oIdx=0 buffer=4 iui=0
/* localReadsVacancy: latencyLeft 7 */
/* pack scheduling: packAIdx:0, packBIdx:6 */
_v_lshl_or_b32 v[vgprValuB_X3_I0+2], v74, 0x8, v[vgprValuB_X3_I0+2] // pack two int8 Vgpr to one half Vgpr
_v_lshl_or_b32 v75, v76, 0x8, v75                  // pack two int8 Vgpr to one half Vgpr
v_or_b32 v[vgprValuB_X3_I0+2], v[vgprValuB_X3_I0+2], v75 // pack two half Vgpr to one Vgpr
v_mfma_i32_32x32x8i8 a[16+0:31+0], v[vgprValuA_X0_I0+0+3+0], v[vgprValuB_X3_I0+1+0+0], a[16:31]
/*  mfmaIndex:11  */
/* localReadsVacancy: latencyLeft 13 */
v_mfma_i32_32x32x8i8 a[32+0:47+0], v[vgprValuA_X0_I0+0+3+0], v[vgprValuB_X3_I0+2+0+0], a[32:47]
/* numPrefetchIter=0 */
/* dataAtIterA=-1 numReadsIterA=1 skipReadsIterA=0 readsPerIterA=1 */
/* dataAtIterB=2 numReadsIterB=4 skipReadsIterB=1 readsPerIterB=12 */


/* iter 4 (last unrolled loop) */

/*  grEndMfmaIndex:0, lwStartMfmaIndex:20, lwEndMfmaIndex:20  */
/*  numMfmaForLR:2, barrierMfmaIndex:21, LocalWritePerMfma:0.395 */
/*  mfmaIndex:12  */
_ds_load_u8 v68, v[vgprLocalReadAddrB] offset:3552 // L -> Reg lro=3456 swapByteOffset=0 ti=32 vIdx=0 rIdx=1 oIdx=0 buffer=5 iui=0
_ds_load_u8_d16_hi v69, v[vgprLocalReadAddrB] offset:3648 // L -> Reg lro=3456 swapByteOffset=0 ti=32 vIdx=0 rIdx=2 oIdx=0 buffer=5 iui=0
_ds_load_u8_d16_hi v70, v[vgprLocalReadAddrB] offset:3744 // L -> Reg lro=3456 swapByteOffset=0 ti=32 vIdx=0 rIdx=3 oIdx=0 buffer=5 iui=0
_ds_load_u8 v71, v[vgprLocalReadAddrB] offset:3584 // L -> Reg lro=3456 swapByteOffset=0 ti=32 vIdx=1 rIdx=1 oIdx=0 buffer=5 iui=0
_ds_load_u8_d16_hi v72, v[vgprLocalReadAddrB] offset:3680 // L -> Reg lro=3456 swapByteOffset=0 ti=32 vIdx=1 rIdx=2 oIdx=0 buffer=5 iui=0
_ds_load_u8_d16_hi v73, v[vgprLocalReadAddrB] offset:3776 // L -> Reg lro=3456 swapByteOffset=0 ti=32 vIdx=1 rIdx=3 oIdx=0 buffer=5 iui=0
s_waitcnt lgkmcnt(6)                               // lgkmcnt=0 vmcnt=-1wait for prior local read local write old=0, new=6 newLW=0 newLR=6
/* pack scheduling: packAIdx:0, packBIdx:3 */
_v_lshl_or_b32 v[vgprValuB_X4_I0+0], v59, 0x8, v[vgprValuB_X4_I0+0] // pack two int8 Vgpr to one half Vgpr
_v_lshl_or_b32 v60, v61, 0x8, v60                  // pack two int8 Vgpr to one half Vgpr
v_or_b32 v[vgprValuB_X4_I0+0], v[vgprValuB_X4_I0+0], v60 // pack two half Vgpr to one Vgpr
_v_lshl_or_b32 v[vgprValuB_X4_I0+1], v62, 0x8, v[vgprValuB_X4_I0+1] // pack two int8 Vgpr to one half Vgpr
_v_lshl_or_b32 v63, v64, 0x8, v63                  // pack two int8 Vgpr to one half Vgpr
v_or_b32 v[vgprValuB_X4_I0+1], v[vgprValuB_X4_I0+1], v63 // pack two half Vgpr to one Vgpr
v_mfma_i32_32x32x8i8 a[0+0:15+0], v[vgprValuA_X4_I0+0+0+0], v[vgprValuB_X4_I0+0+0+0], a[0:15]
/*  mfmaIndex:13  */
_ds_load_u8 v74, v[vgprLocalReadAddrB] offset:3616 // L -> Reg lro=3456 swapByteOffset=0 ti=32 vIdx=2 rIdx=1 oIdx=0 buffer=5 iui=0
_ds_load_u8_d16_hi v75, v[vgprLocalReadAddrB] offset:3712 // L -> Reg lro=3456 swapByteOffset=0 ti=32 vIdx=2 rIdx=2 oIdx=0 buffer=5 iui=0
_ds_load_u8_d16_hi v76, v[vgprLocalReadAddrB] offset:3808 // L -> Reg lro=3456 swapByteOffset=0 ti=32 vIdx=2 rIdx=3 oIdx=0 buffer=5 iui=0
/* localReadsVacancy: latencyLeft 7 */
/* pack scheduling: packAIdx:0, packBIdx:6 */
_v_lshl_or_b32 v[vgprValuB_X4_I0+2], v65, 0x8, v[vgprValuB_X4_I0+2] // pack two int8 Vgpr to one half Vgpr
_v_lshl_or_b32 v66, v67, 0x8, v66                  // pack two int8 Vgpr to one half Vgpr
v_or_b32 v[vgprValuB_X4_I0+2], v[vgprValuB_X4_I0+2], v66 // pack two half Vgpr to one Vgpr
v_mfma_i32_32x32x8i8 a[16+0:31+0], v[vgprValuA_X4_I0+0+0+0], v[vgprValuB_X4_I0+1+0+0], a[16:31]
/*  mfmaIndex:14  */
/* localReadsVacancy: latencyLeft 13 */
v_mfma_i32_32x32x8i8 a[32+0:47+0], v[vgprValuA_X4_I0+0+0+0], v[vgprValuB_X4_I0+2+0+0], a[32:47]
/* numPrefetchIter=0 */
/* dataAtIterA=0 numReadsIterA=1 skipReadsIterA=0 readsPerIterA=1 */
/* dataAtIterB=3 numReadsIterB=5 skipReadsIterB=1 readsPerIterB=12 */


/* iter 5 (last unrolled loop) */

/*  grEndMfmaIndex:0, lwStartMfmaIndex:20, lwEndMfmaIndex:20  */
/*  numMfmaForLR:2, barrierMfmaIndex:21, LocalWritePerMfma:0.395 */
/*  mfmaIndex:15  */
_ds_load_u8 v59, v[vgprLocalReadAddrB] offset:3936 // L -> Reg lro=3840 swapByteOffset=0 ti=32 vIdx=0 rIdx=1 oIdx=0 buffer=6 iui=0
_ds_load_u8_d16_hi v60, v[vgprLocalReadAddrB] offset:4032 // L -> Reg lro=3840 swapByteOffset=0 ti=32 vIdx=0 rIdx=2 oIdx=0 buffer=6 iui=0
_ds_load_u8_d16_hi v61, v[vgprLocalReadAddrB] offset:4128 // L -> Reg lro=3840 swapByteOffset=0 ti=32 vIdx=0 rIdx=3 oIdx=0 buffer=6 iui=0
_ds_load_u8 v62, v[vgprLocalReadAddrB] offset:3968 // L -> Reg lro=3840 swapByteOffset=0 ti=32 vIdx=1 rIdx=1 oIdx=0 buffer=6 iui=0
_ds_load_u8_d16_hi v63, v[vgprLocalReadAddrB] offset:4064 // L -> Reg lro=3840 swapByteOffset=0 ti=32 vIdx=1 rIdx=2 oIdx=0 buffer=6 iui=0
_ds_load_u8_d16_hi v64, v[vgprLocalReadAddrB] offset:4160 // L -> Reg lro=3840 swapByteOffset=0 ti=32 vIdx=1 rIdx=3 oIdx=0 buffer=6 iui=0
s_waitcnt lgkmcnt(6)                               // lgkmcnt=0 vmcnt=-1wait for prior local read local write old=0, new=6 newLW=0 newLR=6
/* pack scheduling: packAIdx:0, packBIdx:3 */
_v_lshl_or_b32 v[vgprValuB_X5_I0+0], v68, 0x8, v[vgprValuB_X5_I0+0] // pack two int8 Vgpr to one half Vgpr
_v_lshl_or_b32 v69, v70, 0x8, v69                  // pack two int8 Vgpr to one half Vgpr
v_or_b32 v[vgprValuB_X5_I0+0], v[vgprValuB_X5_I0+0], v69 // pack two half Vgpr to one Vgpr
_v_lshl_or_b32 v[vgprValuB_X5_I0+1], v71, 0x8, v[vgprValuB_X5_I0+1] // pack two int8 Vgpr to one half Vgpr
_v_lshl_or_b32 v72, v73, 0x8, v72                  // pack two int8 Vgpr to one half Vgpr
v_or_b32 v[vgprValuB_X5_I0+1], v[vgprValuB_X5_I0+1], v72 // pack two half Vgpr to one Vgpr
v_mfma_i32_32x32x8i8 a[0+0:15+0], v[vgprValuA_X4_I0+0+1+0], v[vgprValuB_X5_I0+0+0+0], a[0:15]
/*  mfmaIndex:16  */
_ds_load_u8 v65, v[vgprLocalReadAddrB] offset:4000 // L -> Reg lro=3840 swapByteOffset=0 ti=32 vIdx=2 rIdx=1 oIdx=0 buffer=6 iui=0
_ds_load_u8_d16_hi v66, v[vgprLocalReadAddrB] offset:4096 // L -> Reg lro=3840 swapByteOffset=0 ti=32 vIdx=2 rIdx=2 oIdx=0 buffer=6 iui=0
_ds_load_u8_d16_hi v67, v[vgprLocalReadAddrB] offset:4192 // L -> Reg lro=3840 swapByteOffset=0 ti=32 vIdx=2 rIdx=3 oIdx=0 buffer=6 iui=0
/* localReadsVacancy: latencyLeft 7 */
/* pack scheduling: packAIdx:0, packBIdx:6 */
_v_lshl_or_b32 v[vgprValuB_X5_I0+2], v74, 0x8, v[vgprValuB_X5_I0+2] // pack two int8 Vgpr to one half Vgpr
_v_lshl_or_b32 v75, v76, 0x8, v75                  // pack two int8 Vgpr to one half Vgpr
v_or_b32 v[vgprValuB_X5_I0+2], v[vgprValuB_X5_I0+2], v75 // pack two half Vgpr to one Vgpr
v_mfma_i32_32x32x8i8 a[16+0:31+0], v[vgprValuA_X4_I0+0+1+0], v[vgprValuB_X5_I0+1+0+0], a[16:31]
/*  mfmaIndex:17  */
/* localReadsVacancy: latencyLeft 13 */
v_mfma_i32_32x32x8i8 a[32+0:47+0], v[vgprValuA_X4_I0+0+1+0], v[vgprValuB_X5_I0+2+0+0], a[32:47]
/* numPrefetchIter=0 */
/* dataAtIterA=0 numReadsIterA=1 skipReadsIterA=0 readsPerIterA=1 */
/* dataAtIterB=4 numReadsIterB=6 skipReadsIterB=1 readsPerIterB=12 */


/* iter 6 (last unrolled loop) */

/*  grEndMfmaIndex:0, lwStartMfmaIndex:20, lwEndMfmaIndex:20  */
/*  numMfmaForLR:2, barrierMfmaIndex:21, LocalWritePerMfma:0.395 */
/*  mfmaIndex:18  */
_ds_load_u8 v68, v[vgprLocalReadAddrB] offset:4320 // L -> Reg lro=4224 swapByteOffset=0 ti=32 vIdx=0 rIdx=1 oIdx=0 buffer=7 iui=0
_ds_load_u8_d16_hi v69, v[vgprLocalReadAddrB] offset:4416 // L -> Reg lro=4224 swapByteOffset=0 ti=32 vIdx=0 rIdx=2 oIdx=0 buffer=7 iui=0
_ds_load_u8_d16_hi v70, v[vgprLocalReadAddrB] offset:4512 // L -> Reg lro=4224 swapByteOffset=0 ti=32 vIdx=0 rIdx=3 oIdx=0 buffer=7 iui=0
_ds_load_u8 v71, v[vgprLocalReadAddrB] offset:4352 // L -> Reg lro=4224 swapByteOffset=0 ti=32 vIdx=1 rIdx=1 oIdx=0 buffer=7 iui=0
_ds_load_u8_d16_hi v72, v[vgprLocalReadAddrB] offset:4448 // L -> Reg lro=4224 swapByteOffset=0 ti=32 vIdx=1 rIdx=2 oIdx=0 buffer=7 iui=0
_ds_load_u8_d16_hi v73, v[vgprLocalReadAddrB] offset:4544 // L -> Reg lro=4224 swapByteOffset=0 ti=32 vIdx=1 rIdx=3 oIdx=0 buffer=7 iui=0
s_waitcnt lgkmcnt(6)                               // lgkmcnt=0 vmcnt=-1wait for prior local read local write old=0, new=6 newLW=0 newLR=6
/* pack scheduling: packAIdx:0, packBIdx:3 */
_v_lshl_or_b32 v[vgprValuB_X6_I0+0], v59, 0x8, v[vgprValuB_X6_I0+0] // pack two int8 Vgpr to one half Vgpr
_v_lshl_or_b32 v60, v61, 0x8, v60                  // pack two int8 Vgpr to one half Vgpr
v_or_b32 v[vgprValuB_X6_I0+0], v[vgprValuB_X6_I0+0], v60 // pack two half Vgpr to one Vgpr
_v_lshl_or_b32 v[vgprValuB_X6_I0+1], v62, 0x8, v[vgprValuB_X6_I0+1] // pack two int8 Vgpr to one half Vgpr
_v_lshl_or_b32 v63, v64, 0x8, v63                  // pack two int8 Vgpr to one half Vgpr
v_or_b32 v[vgprValuB_X6_I0+1], v[vgprValuB_X6_I0+1], v63 // pack two half Vgpr to one Vgpr
v_mfma_i32_32x32x8i8 a[0+0:15+0], v[vgprValuA_X4_I0+0+2+0], v[vgprValuB_X6_I0+0+0+0], a[0:15]
/*  mfmaIndex:19  */
_ds_load_u8 v74, v[vgprLocalReadAddrB] offset:4384 // L -> Reg lro=4224 swapByteOffset=0 ti=32 vIdx=2 rIdx=1 oIdx=0 buffer=7 iui=0
_ds_load_u8_d16_hi v75, v[vgprLocalReadAddrB] offset:4480 // L -> Reg lro=4224 swapByteOffset=0 ti=32 vIdx=2 rIdx=2 oIdx=0 buffer=7 iui=0
_ds_load_u8_d16_hi v76, v[vgprLocalReadAddrB] offset:4576 // L -> Reg lro=4224 swapByteOffset=0 ti=32 vIdx=2 rIdx=3 oIdx=0 buffer=7 iui=0
/* localReadsVacancy: latencyLeft 7 */
/* pack scheduling: packAIdx:0, packBIdx:6 */
_v_lshl_or_b32 v[vgprValuB_X6_I0+2], v65, 0x8, v[vgprValuB_X6_I0+2] // pack two int8 Vgpr to one half Vgpr
_v_lshl_or_b32 v66, v67, 0x8, v66                  // pack two int8 Vgpr to one half Vgpr
v_or_b32 v[vgprValuB_X6_I0+2], v[vgprValuB_X6_I0+2], v66 // pack two half Vgpr to one Vgpr
v_mfma_i32_32x32x8i8 a[16+0:31+0], v[vgprValuA_X4_I0+0+2+0], v[vgprValuB_X6_I0+1+0+0], a[16:31]
/*  mfmaIndex:20  */
/* localReadsVacancy: latencyLeft 13 */
v_mfma_i32_32x32x8i8 a[32+0:47+0], v[vgprValuA_X4_I0+0+2+0], v[vgprValuB_X6_I0+2+0+0], a[32:47]
/* numPrefetchIter=0 */
/* dataAtIterA=0 numReadsIterA=1 skipReadsIterA=0 readsPerIterA=1 */
/* dataAtIterB=5 numReadsIterB=7 skipReadsIterB=1 readsPerIterB=12 */


/* iter 7 (last unrolled loop) */

/*  grEndMfmaIndex:0, lwStartMfmaIndex:20, lwEndMfmaIndex:20  */
/*  numMfmaForLR:2, barrierMfmaIndex:21, LocalWritePerMfma:0.395 */
/*  mfmaIndex:21  */
s_waitcnt lgkmcnt(0)                               // lgkmcnt=0 vmcnt=-1wait for prior local read local write old=0, new=0 newLW=0 newLR=0
/* pack scheduling: packAIdx:0, packBIdx:3 */
_v_lshl_or_b32 v[vgprValuB_X7_I0+0], v68, 0x8, v[vgprValuB_X7_I0+0] // pack two int8 Vgpr to one half Vgpr
_v_lshl_or_b32 v69, v70, 0x8, v69                  // pack two int8 Vgpr to one half Vgpr
v_or_b32 v[vgprValuB_X7_I0+0], v[vgprValuB_X7_I0+0], v69 // pack two half Vgpr to one Vgpr
_v_lshl_or_b32 v[vgprValuB_X7_I0+1], v71, 0x8, v[vgprValuB_X7_I0+1] // pack two int8 Vgpr to one half Vgpr
_v_lshl_or_b32 v72, v73, 0x8, v72                  // pack two int8 Vgpr to one half Vgpr
v_or_b32 v[vgprValuB_X7_I0+1], v[vgprValuB_X7_I0+1], v72 // pack two half Vgpr to one Vgpr
v_mfma_i32_32x32x8i8 a[0+0:15+0], v[vgprValuA_X4_I0+0+3+0], v[vgprValuB_X7_I0+0+0+0], a[0:15]
/*  mfmaIndex:22  */
/* pack scheduling: packAIdx:0, packBIdx:6 */
_v_lshl_or_b32 v[vgprValuB_X7_I0+2], v74, 0x8, v[vgprValuB_X7_I0+2] // pack two int8 Vgpr to one half Vgpr
_v_lshl_or_b32 v75, v76, 0x8, v75                  // pack two int8 Vgpr to one half Vgpr
v_or_b32 v[vgprValuB_X7_I0+2], v[vgprValuB_X7_I0+2], v75 // pack two half Vgpr to one Vgpr
v_mfma_i32_32x32x8i8 a[16+0:31+0], v[vgprValuA_X4_I0+0+3+0], v[vgprValuB_X7_I0+1+0+0], a[16:31]
/*  mfmaIndex:23  */
v_mfma_i32_32x32x8i8 a[32+0:47+0], v[vgprValuA_X4_I0+0+3+0], v[vgprValuB_X7_I0+2+0+0], a[32:47]
/* numPrefetchIter=0 */
/* dataAtIterA=0 numReadsIterA=1 skipReadsIterA=0 readsPerIterA=1 */
/* dataAtIterB=6 numReadsIterB=7 skipReadsIterB=0 readsPerIterB=12 */

/* Stores for OptNLL */
Summation_End_OptNLL_17:
/* endSummation: add vgpr [0...56) to pool */
.set NumFullBlocks, UNDEF
.set WgmRemainder1, UNDEF
.set MagicNumberWgmRemainder1, UNDEF

/* Mapping of Acc register -> C Vgpr register */
/* computeStoreVgprs */
v_lshrrev_b32 v4, 6, v[vgprSerial]                 // v4 = v[vgprSerial] / 64
v_lshrrev_b32 v1, 2, v4                            // v1 = v4 / 4
v_mul_lo_u32 v1, 0x20, v1                          // wave coordination offset 1
v_and_b32 v5, 31, v[vgprSerial]                    // v5 = v[vgprSerial] % 32
_v_add_lshl_u32 v1, v5, v1, 0                      // coordination 1 = vwb *(wave_id1 + tid1)
v_mul_lo_u32 v2, v1, s[sgprStrideC1J]              //  offset 1
v_mul_lo_u32 v3, v1, s[sgprStrideD1J]              //  offset 1
v_and_b32 v0, 63, v[vgprSerial]                    // v0 = v[vgprSerial] % 64
v_lshrrev_b32 v0, 5, v0                            // v0 = v0 / 32
v_lshlrev_b32 v0, 0x2, v0                          // thread0 * continuous_output
v_and_b32 v5, 3, v4                                // v5 = v4 % 4
v_mul_lo_u32 v5, 0x20, v5                          // wave coordination offset 0
_v_add_lshl_u32 v0, v5, v0, 0                      // coordination 0 = vwa *(wave_id0 + tid0)
s_mul_i32 s31, 128, s[sgprWorkGroup0]              // wgp0 * MT0
_v_add_u32 v0, s31, v0                             // coord 0 = (tid0/MI_m)*4 + waveG0*MIB_m + MT0*SG0
s_mul_i32 s31, 96, s[sgprWorkGroup1]               // wgp1 * MT1
_v_add_u32 v1, s31, v1                             // coord 1 = (tid0%MI_m) + waveG1*MIB_n + MT1*SG1
/* Store Remap Local Write address */
v_lshrrev_b32 v5, 8, v[vgprSerial]                 // v5 = v[vgprSerial] / 256
v_and_b32 v4, 255, v[vgprSerial]                   // v4 = v[vgprSerial] % 256
v_mul_lo_u32 v13, 0x20, v5                         // coord1 offset of LDS for each Wave
v_and_b32 v5, 0x1f, v[vgprSerial]                  // coord1 offset of LDS for each thread
_v_add_u32 v5, v13, v5                             // coord1 offset in MacroTile
v_mov_b32 v11, 0x84                                // lds stride = MT0 + PAD
v_mul_lo_u32 v9, v5, v11                           // lds coord1 offset = Col-id* lds stride
v_lshrrev_b32 v10, 6, v4                           // v10 = v4 / 64
v_and_b32 v4, 63, v4                               // v4 = v4 % 64
v_lshrrev_b32 v12, 0x5, v4                         // tid / matrixInstN
v_lshlrev_b32 v12, 0x2, v12                        // lds coord0 offset *= 4 (each thread hold 4 element)
v_mad_u32_u24 v12, 32, v10, v12                    // coord0 += waveCoord0 * wave M shape(blockM*MiM)
_v_add_lshl_u32 v7, v9, v12, 0x2                   // local write C address

/* Store Remap Local Read address */
v_lshrrev_b32 v5, 6, v[vgprSerial]                 // v5 = v[vgprSerial] / 64
v_and_b32 v4, 63, v[vgprSerial]                    // v4 = v[vgprSerial] % 64
v_mul_lo_u32 v13, 0x8, v5                          // coord1 offset of LDS for each Wave
v_lshrrev_b32 v10, 0x5, v4                         // tid / nThreadPerCol
_v_add_u32 v6, v13, v10                            // coord1 offset in MacroTile
v_mul_lo_u32 v9, v6, v11                           // lds coord1 offset = Col-id* lds stride
v_and_b32 v12, 0x1f, v4                            // coord0 offset of LDS for each thread
v_lshlrev_b32 v12, 0x2, v12                        // lds coord0 offset *= gwvw (each thread hold gwvw element)
_v_add_lshl_u32 v8, v9, v12, 0x2                   // local read C address

/* Store Remap global write coord0 and coord1 */
v_lshrrev_b32 v5, 8, v[vgprSerial]                 // v5 = v[vgprSerial] / 256
v_and_b32 v4, 255, v[vgprSerial]                   // v4 = v[vgprSerial] % 256
v_mul_lo_u32 v13, 0x20, v5                         // coord1 offset of global memory for each Wave
v_lshrrev_b32 v5, 6, v4                            // v5 = v4 / 64
v_and_b32 v4, 63, v4                               // v4 = v4 % 64
v_mad_u32_u24 v13, 8, v5, v13                      // waveCoord1 += waveCoord0 * MiN / WaveGroupM
v_lshrrev_b32 v10, 0x5, v4                         // tid / nThreadPerCol
_v_add_u32 v6, v13, v10                            // coord1 offset in MacroTile
s_mul_i32 s32, 0x80, s[sgprWorkGroup0]             // s32 = wg0*MT0
_v_add_co_u32 v4, vcc, s32, v12                    // coord0 = coord0 + wg0 * MT0
s_mul_i32 s33, MT1, s[sgprWorkGroup1]              // <- wg1*MT1
_v_add_co_u32 v5, vcc, s33, v6                     // coord1 = tid1*VW + wg1*MT1

// Skip force waitcnt0
s_barrier //StoreRemap Start
GW_B0_E0_20:

/* edge=0, allocate 2 sgpr. perBatchTmpS=2 perBatchMaskS=0 perElementMaskS=0 elementsPerBatch=4 */
/* optSingleColVgpr=1 optSharedColVgpr=0 optSGPRUsage=BufferLoad_Mask optSrdIncForRow=1 */

/******************************************/
/* Global Write Batch #0 (d1,d0,vc1,vc0) = */
/*    (0,0,0,0:vw4); (0,1,0,0:vw4); (0,2,0,0:vw4); (0,3,0,0:vw4) */
/******************************************/

/* calc coords, apply mask, and issue loads (if necessary) */
/* (d1,vc1,d0,vc0)=(0,0,0,0) */
/* (d1,vc1,d0,vc0)=(0,0,1,0) */
	;; [unrolled: 1-line block ×4, first 2 shown]
_v_add_lshl_u32 v9, v3, v0, 0x2                    // optSingleColVgpr scaleToBpe: sharedAddrVgpr <- cinRowPtr + coord0, scaled by BPE. BSHERE:coord0=0, coord0Vgpr=0
v_accvgpr_read_b32 v[vgprValuC+16], acc0 // copy acc to vreg[0]
v_accvgpr_read_b32 v[vgprValuC+17], acc1 // copy acc to vreg[1]
v_accvgpr_read_b32 v[vgprValuC+18], acc2 // copy acc to vreg[2]
v_accvgpr_read_b32 v[vgprValuC+19], acc3 // copy acc to vreg[3]
v_accvgpr_read_b32 v[vgprValuC+20], acc4 // copy acc to vreg[4]
v_accvgpr_read_b32 v[vgprValuC+21], acc5 // copy acc to vreg[5]
v_accvgpr_read_b32 v[vgprValuC+22], acc6 // copy acc to vreg[6]
v_accvgpr_read_b32 v[vgprValuC+23], acc7 // copy acc to vreg[7]
v_accvgpr_read_b32 v[vgprValuC+24], acc8 // copy acc to vreg[8]
v_accvgpr_read_b32 v[vgprValuC+25], acc9 // copy acc to vreg[9]
v_accvgpr_read_b32 v[vgprValuC+26], acc10 // copy acc to vreg[10]
v_accvgpr_read_b32 v[vgprValuC+27], acc11 // copy acc to vreg[11]
v_accvgpr_read_b32 v[vgprValuC+28], acc12 // copy acc to vreg[12]
v_accvgpr_read_b32 v[vgprValuC+29], acc13 // copy acc to vreg[13]
v_accvgpr_read_b32 v[vgprValuC+30], acc14 // copy acc to vreg[14]
v_accvgpr_read_b32 v[vgprValuC+31], acc15 // copy acc to vreg[15]
s_nop 1                                            // 2 wait states required before reading vgpr

/* apply mask, calc new C and issue writes */
_ds_store_b128 v7, v[16:19], offset:0              // storeRemap lw
_ds_store_b128 v7, v[20:23], offset:32             // storeRemap lw
_ds_store_b128 v7, v[24:27], offset:64             // storeRemap lw
	;; [unrolled: 1-line block ×3, first 2 shown]

/* Handle local read and global write */
s_waitcnt lgkmcnt(0)                               // wait for LDS write
s_barrier //wait all lds write finished

_ds_load_b128 v[16:19], v8, offset:0               // storeRemap lr
_ds_load_b128 v[20:23], v8, offset:1056            // storeRemap lr
_ds_load_b128 v[24:27], v8, offset:2112            // storeRemap lr
_ds_load_b128 v[28:31], v8, offset:3168            // storeRemap lr

v_mov_b32 v13, v6                                  // coord1
v_mul_lo_u32 v13, v13, s[sgprStrideD1J]            // coord1 offset =  coord1 * StrideD
_v_add_lshl_u32 v13, v13, v4, 0x2                  // global write D address
s_waitcnt lgkmcnt(3)                               // wait for LDS read
_buffer_store_b128 v[16:19], v13, s[sgprSrdD:sgprSrdD+3], 0, offen, offset:0 // store D
_v_add_u32 v13, v6, 2                              // coord1 += nColPerLoad
v_mul_lo_u32 v13, v13, s[sgprStrideD1J]            // coord1 offset =  coord1 * StrideD
_v_add_lshl_u32 v13, v13, v4, 0x2                  // global write D address
s_waitcnt lgkmcnt(2)                               // wait for LDS read
_buffer_store_b128 v[20:23], v13, s[sgprSrdD:sgprSrdD+3], 0, offen, offset:0 // store D
_v_add_u32 v13, v6, 4                              // coord1 += nColPerLoad
	;; [unrolled: 5-line block ×3, first 2 shown]
v_mul_lo_u32 v13, v13, s[sgprStrideD1J]            // coord1 offset =  coord1 * StrideD
_v_add_lshl_u32 v13, v13, v4, 0x2                  // global write D address
s_waitcnt lgkmcnt(0)                               // wait for LDS read
_buffer_store_b128 v[28:31], v13, s[sgprSrdD:sgprSrdD+3], 0, offen, offset:0 // store D

s_barrier //wait all lds read finished
s_nop 0                                            // 1 wait state required when next inst writes vgprs held by previous dwordx4 store inst
/* optSingleColVgpr=1 optSharedColVgpr=0 optSGPRUsage=BufferLoad_Mask optSrdIncForRow=1 */

/******************************************/
/* Global Write Batch #1 (d1,d0,vc1,vc0) = */
/*    (1,0,0,0:vw4); (1,1,0,0:vw4); (1,2,0,0:vw4); (1,3,0,0:vw4) */
/******************************************/

/* calc coords, apply mask, and issue loads (if necessary) */
/* (d1,vc1,d0,vc0)=(1,0,0,0) */
/* (d1,vc1,d0,vc0)=(1,0,1,0) */
	;; [unrolled: 1-line block ×4, first 2 shown]
v_accvgpr_read_b32 v[vgprValuC+16], acc16 // copy acc to vreg[16]
v_accvgpr_read_b32 v[vgprValuC+17], acc17 // copy acc to vreg[17]
v_accvgpr_read_b32 v[vgprValuC+18], acc18 // copy acc to vreg[18]
v_accvgpr_read_b32 v[vgprValuC+19], acc19 // copy acc to vreg[19]
v_accvgpr_read_b32 v[vgprValuC+20], acc20 // copy acc to vreg[20]
v_accvgpr_read_b32 v[vgprValuC+21], acc21 // copy acc to vreg[21]
v_accvgpr_read_b32 v[vgprValuC+22], acc22 // copy acc to vreg[22]
v_accvgpr_read_b32 v[vgprValuC+23], acc23 // copy acc to vreg[23]
v_accvgpr_read_b32 v[vgprValuC+24], acc24 // copy acc to vreg[24]
v_accvgpr_read_b32 v[vgprValuC+25], acc25 // copy acc to vreg[25]
v_accvgpr_read_b32 v[vgprValuC+26], acc26 // copy acc to vreg[26]
v_accvgpr_read_b32 v[vgprValuC+27], acc27 // copy acc to vreg[27]
v_accvgpr_read_b32 v[vgprValuC+28], acc28 // copy acc to vreg[28]
v_accvgpr_read_b32 v[vgprValuC+29], acc29 // copy acc to vreg[29]
v_accvgpr_read_b32 v[vgprValuC+30], acc30 // copy acc to vreg[30]
v_accvgpr_read_b32 v[vgprValuC+31], acc31 // copy acc to vreg[31]
s_nop 1                                            // 2 wait states required before reading vgpr

/* apply mask, calc new C and issue writes */

/* StoreRemap: shift coord1 address */
s_mul_i32 s32, s[sgprStrideD1J], 128               // scale StrideD *= numRows(32) * bpe
s_add_u32  s[sgprSrdD+0], s[sgprSrdD+0], s32       // incToNextRow: gra SRD += inc(lower)
s_addc_u32  s[sgprSrdD+1], s[sgprSrdD+1], 0        // incToNextRow: gra SRD += inc(upper)
v_mov_b32 v10, 32                                  // set shift rows
_v_add_u32 v5, v5, v10                             // shift storeRemap coord1
_ds_store_b128 v7, v[16:19], offset:0              // storeRemap lw
_ds_store_b128 v7, v[20:23], offset:32             // storeRemap lw
_ds_store_b128 v7, v[24:27], offset:64             // storeRemap lw
	;; [unrolled: 1-line block ×3, first 2 shown]

/* Handle local read and global write */
s_waitcnt lgkmcnt(0)                               // wait for LDS write
s_barrier //wait all lds write finished

_ds_load_b128 v[16:19], v8, offset:0               // storeRemap lr
_ds_load_b128 v[20:23], v8, offset:1056            // storeRemap lr
_ds_load_b128 v[24:27], v8, offset:2112            // storeRemap lr
	;; [unrolled: 1-line block ×3, first 2 shown]

v_mov_b32 v13, v6                                  // coord1
v_mul_lo_u32 v13, v13, s[sgprStrideD1J]            // coord1 offset =  coord1 * StrideD
_v_add_lshl_u32 v13, v13, v4, 0x2                  // global write D address
s_waitcnt lgkmcnt(3)                               // wait for LDS read
_buffer_store_b128 v[16:19], v13, s[sgprSrdD:sgprSrdD+3], 0, offen, offset:0 // store D
_v_add_u32 v13, v6, 2                              // coord1 += nColPerLoad
v_mul_lo_u32 v13, v13, s[sgprStrideD1J]            // coord1 offset =  coord1 * StrideD
_v_add_lshl_u32 v13, v13, v4, 0x2                  // global write D address
s_waitcnt lgkmcnt(2)                               // wait for LDS read
_buffer_store_b128 v[20:23], v13, s[sgprSrdD:sgprSrdD+3], 0, offen, offset:0 // store D
_v_add_u32 v13, v6, 4                              // coord1 += nColPerLoad
	;; [unrolled: 5-line block ×3, first 2 shown]
v_mul_lo_u32 v13, v13, s[sgprStrideD1J]            // coord1 offset =  coord1 * StrideD
_v_add_lshl_u32 v13, v13, v4, 0x2                  // global write D address
s_waitcnt lgkmcnt(0)                               // wait for LDS read
_buffer_store_b128 v[28:31], v13, s[sgprSrdD:sgprSrdD+3], 0, offen, offset:0 // store D

s_barrier //wait all lds read finished
s_nop 0                                            // 1 wait state required when next inst writes vgprs held by previous dwordx4 store inst
/* optSingleColVgpr=1 optSharedColVgpr=0 optSGPRUsage=BufferLoad_Mask optSrdIncForRow=1 */

/******************************************/
/* Global Write Batch #2 (d1,d0,vc1,vc0) = */
/*    (2,0,0,0:vw4); (2,1,0,0:vw4); (2,2,0,0:vw4); (2,3,0,0:vw4) */
/******************************************/

/* calc coords, apply mask, and issue loads (if necessary) */
/* (d1,vc1,d0,vc0)=(2,0,0,0) */
/* (d1,vc1,d0,vc0)=(2,0,1,0) */
	;; [unrolled: 1-line block ×4, first 2 shown]
v_accvgpr_read_b32 v[vgprValuC+16], acc32 // copy acc to vreg[32]
v_accvgpr_read_b32 v[vgprValuC+17], acc33 // copy acc to vreg[33]
v_accvgpr_read_b32 v[vgprValuC+18], acc34 // copy acc to vreg[34]
v_accvgpr_read_b32 v[vgprValuC+19], acc35 // copy acc to vreg[35]
v_accvgpr_read_b32 v[vgprValuC+20], acc36 // copy acc to vreg[36]
v_accvgpr_read_b32 v[vgprValuC+21], acc37 // copy acc to vreg[37]
v_accvgpr_read_b32 v[vgprValuC+22], acc38 // copy acc to vreg[38]
v_accvgpr_read_b32 v[vgprValuC+23], acc39 // copy acc to vreg[39]
v_accvgpr_read_b32 v[vgprValuC+24], acc40 // copy acc to vreg[40]
v_accvgpr_read_b32 v[vgprValuC+25], acc41 // copy acc to vreg[41]
v_accvgpr_read_b32 v[vgprValuC+26], acc42 // copy acc to vreg[42]
v_accvgpr_read_b32 v[vgprValuC+27], acc43 // copy acc to vreg[43]
v_accvgpr_read_b32 v[vgprValuC+28], acc44 // copy acc to vreg[44]
v_accvgpr_read_b32 v[vgprValuC+29], acc45 // copy acc to vreg[45]
v_accvgpr_read_b32 v[vgprValuC+30], acc46 // copy acc to vreg[46]
v_accvgpr_read_b32 v[vgprValuC+31], acc47 // copy acc to vreg[47]
s_nop 1                                            // 2 wait states required before reading vgpr

/* apply mask, calc new C and issue writes */

/* StoreRemap: shift coord1 address */
s_mul_i32 s32, s[sgprStrideD1J], 128               // scale StrideD *= numRows(32) * bpe
s_add_u32  s[sgprSrdD+0], s[sgprSrdD+0], s32       // incToNextRow: gra SRD += inc(lower)
s_addc_u32  s[sgprSrdD+1], s[sgprSrdD+1], 0        // incToNextRow: gra SRD += inc(upper)
v_mov_b32 v10, 32                                  // set shift rows
_v_add_u32 v5, v5, v10                             // shift storeRemap coord1
_ds_store_b128 v7, v[16:19], offset:0              // storeRemap lw
_ds_store_b128 v7, v[20:23], offset:32             // storeRemap lw
_ds_store_b128 v7, v[24:27], offset:64             // storeRemap lw
	;; [unrolled: 1-line block ×3, first 2 shown]

/* Handle local read and global write */
s_waitcnt lgkmcnt(0)                               // wait for LDS write
s_barrier //wait all lds write finished

_ds_load_b128 v[16:19], v8, offset:0               // storeRemap lr
_ds_load_b128 v[20:23], v8, offset:1056            // storeRemap lr
_ds_load_b128 v[24:27], v8, offset:2112            // storeRemap lr
	;; [unrolled: 1-line block ×3, first 2 shown]

v_mov_b32 v13, v6                                  // coord1
v_mul_lo_u32 v13, v13, s[sgprStrideD1J]            // coord1 offset =  coord1 * StrideD
_v_add_lshl_u32 v13, v13, v4, 0x2                  // global write D address
s_waitcnt lgkmcnt(3)                               // wait for LDS read
_buffer_store_b128 v[16:19], v13, s[sgprSrdD:sgprSrdD+3], 0, offen, offset:0 // store D
_v_add_u32 v13, v6, 2                              // coord1 += nColPerLoad
v_mul_lo_u32 v13, v13, s[sgprStrideD1J]            // coord1 offset =  coord1 * StrideD
_v_add_lshl_u32 v13, v13, v4, 0x2                  // global write D address
s_waitcnt lgkmcnt(2)                               // wait for LDS read
_buffer_store_b128 v[20:23], v13, s[sgprSrdD:sgprSrdD+3], 0, offen, offset:0 // store D
_v_add_u32 v13, v6, 4                              // coord1 += nColPerLoad
	;; [unrolled: 5-line block ×3, first 2 shown]
v_mul_lo_u32 v13, v13, s[sgprStrideD1J]            // coord1 offset =  coord1 * StrideD
_v_add_lshl_u32 v13, v13, v4, 0x2                  // global write D address
s_waitcnt lgkmcnt(0)                               // wait for LDS read
_buffer_store_b128 v[28:31], v13, s[sgprSrdD:sgprSrdD+3], 0, offen, offset:0 // store D

s_barrier //wait all lds read finished
s_nop 0                                            // 1 wait state required when next inst writes vgprs held by previous dwordx4 store inst
s_branch label_GW_End_22                           // jump to end
label_GW_End_22:

s_endpgm                                           // Kernel End
OptNLL_End_16:


/******************************************/
/* Ord. NoLoadLoop - Begin                                      */
/******************************************/




/* iter 0 (last unrolled loop) */

/*  grEndMfmaIndex:0, lwStartMfmaIndex:20, lwEndMfmaIndex:20  */
/*  numMfmaForLR:2, barrierMfmaIndex:21, LocalWritePerMfma:0.395 */
/*  mfmaIndex:0  */
s_waitcnt lgkmcnt(0)                               // lgkmcnt=0 vmcnt=-1wait for prior local read local write old=0, new=0 newLW=0 newLR=0
/* pack scheduling: packAIdx:0, packBIdx:3 */
_v_lshl_or_b32 v[vgprValuB_X0_I0+0], v59, 0x8, v[vgprValuB_X0_I0+0] // pack two int8 Vgpr to one half Vgpr
_v_lshl_or_b32 v60, v61, 0x8, v60                  // pack two int8 Vgpr to one half Vgpr
v_or_b32 v[vgprValuB_X0_I0+0], v[vgprValuB_X0_I0+0], v60 // pack two half Vgpr to one Vgpr
_v_lshl_or_b32 v[vgprValuB_X0_I0+1], v62, 0x8, v[vgprValuB_X0_I0+1] // pack two int8 Vgpr to one half Vgpr
_v_lshl_or_b32 v63, v64, 0x8, v63                  // pack two int8 Vgpr to one half Vgpr
v_or_b32 v[vgprValuB_X0_I0+1], v[vgprValuB_X0_I0+1], v63 // pack two half Vgpr to one Vgpr
v_mfma_i32_32x32x8i8 a[0+0:15+0], v[vgprValuA_X0_I0+0+0+0], v[vgprValuB_X0_I0+0+0+0], a[0:15]
/*  mfmaIndex:1  */
_ds_load_b128 v[vgprValuA_X4_I0+0:vgprValuA_X4_I0+0+3], v[vgprLocalReadAddrA] offset:32 // L -> Reg lro=32 swapByteOffset=0 ti=128 vIdx=0 rIdx=0 oIdx=0 buffer=4 iui=0
_ds_load_u8 v[vgprValuB_X1_I0+0], v[vgprLocalReadAddrB] offset:384 // L -> Reg lro=384 swapByteOffset=0 ti=32 vIdx=0 rIdx=0 oIdx=0 buffer=1 iui=0
_ds_load_u8 v68, v[vgprLocalReadAddrB] offset:480  // L -> Reg lro=384 swapByteOffset=0 ti=32 vIdx=0 rIdx=1 oIdx=0 buffer=1 iui=0
_ds_load_u8_d16_hi v69, v[vgprLocalReadAddrB] offset:576 // L -> Reg lro=384 swapByteOffset=0 ti=32 vIdx=0 rIdx=2 oIdx=0 buffer=1 iui=0
_ds_load_u8_d16_hi v70, v[vgprLocalReadAddrB] offset:672 // L -> Reg lro=384 swapByteOffset=0 ti=32 vIdx=0 rIdx=3 oIdx=0 buffer=1 iui=0
_ds_load_u8 v[vgprValuB_X1_I0+1], v[vgprLocalReadAddrB] offset:416 // L -> Reg lro=384 swapByteOffset=0 ti=32 vIdx=1 rIdx=0 oIdx=0 buffer=1 iui=0
_ds_load_u8 v71, v[vgprLocalReadAddrB] offset:512  // L -> Reg lro=384 swapByteOffset=0 ti=32 vIdx=1 rIdx=1 oIdx=0 buffer=1 iui=0
/* pack scheduling: packAIdx:0, packBIdx:6 */
_v_lshl_or_b32 v[vgprValuB_X0_I0+2], v65, 0x8, v[vgprValuB_X0_I0+2] // pack two int8 Vgpr to one half Vgpr
_v_lshl_or_b32 v66, v67, 0x8, v66                  // pack two int8 Vgpr to one half Vgpr
v_or_b32 v[vgprValuB_X0_I0+2], v[vgprValuB_X0_I0+2], v66 // pack two half Vgpr to one Vgpr
v_mfma_i32_32x32x8i8 a[16+0:31+0], v[vgprValuA_X0_I0+0+0+0], v[vgprValuB_X0_I0+1+0+0], a[16:31]
/*  mfmaIndex:2  */
_ds_load_u8_d16_hi v72, v[vgprLocalReadAddrB] offset:608 // L -> Reg lro=384 swapByteOffset=0 ti=32 vIdx=1 rIdx=2 oIdx=0 buffer=1 iui=0
_ds_load_u8_d16_hi v73, v[vgprLocalReadAddrB] offset:704 // L -> Reg lro=384 swapByteOffset=0 ti=32 vIdx=1 rIdx=3 oIdx=0 buffer=1 iui=0
_ds_load_u8 v[vgprValuB_X1_I0+2], v[vgprLocalReadAddrB] offset:448 // L -> Reg lro=384 swapByteOffset=0 ti=32 vIdx=2 rIdx=0 oIdx=0 buffer=1 iui=0
_ds_load_u8 v74, v[vgprLocalReadAddrB] offset:544  // L -> Reg lro=384 swapByteOffset=0 ti=32 vIdx=2 rIdx=1 oIdx=0 buffer=1 iui=0
_ds_load_u8_d16_hi v75, v[vgprLocalReadAddrB] offset:640 // L -> Reg lro=384 swapByteOffset=0 ti=32 vIdx=2 rIdx=2 oIdx=0 buffer=1 iui=0
_ds_load_u8_d16_hi v76, v[vgprLocalReadAddrB] offset:736 // L -> Reg lro=384 swapByteOffset=0 ti=32 vIdx=2 rIdx=3 oIdx=0 buffer=1 iui=0
/* localReadsVacancy: latencyLeft 1 */
v_mfma_i32_32x32x8i8 a[32+0:47+0], v[vgprValuA_X0_I0+0+0+0], v[vgprValuB_X0_I0+2+0+0], a[32:47]
/* numPrefetchIter=0 */
/* dataAtIterA=-1 numReadsIterA=1 skipReadsIterA=1 readsPerIterA=1 */
/* dataAtIterB=-1 numReadsIterB=1 skipReadsIterB=1 readsPerIterB=12 */


/* iter 1 (last unrolled loop) */

/*  grEndMfmaIndex:0, lwStartMfmaIndex:20, lwEndMfmaIndex:20  */
/*  numMfmaForLR:2, barrierMfmaIndex:21, LocalWritePerMfma:0.395 */
/*  mfmaIndex:3  */
_ds_load_u8 v[vgprValuB_X2_I0+0], v[vgprLocalReadAddrB] offset:768 // L -> Reg lro=768 swapByteOffset=0 ti=32 vIdx=0 rIdx=0 oIdx=0 buffer=2 iui=0
_ds_load_u8 v59, v[vgprLocalReadAddrB] offset:864  // L -> Reg lro=768 swapByteOffset=0 ti=32 vIdx=0 rIdx=1 oIdx=0 buffer=2 iui=0
_ds_load_u8_d16_hi v60, v[vgprLocalReadAddrB] offset:960 // L -> Reg lro=768 swapByteOffset=0 ti=32 vIdx=0 rIdx=2 oIdx=0 buffer=2 iui=0
_ds_load_u8_d16_hi v61, v[vgprLocalReadAddrB] offset:1056 // L -> Reg lro=768 swapByteOffset=0 ti=32 vIdx=0 rIdx=3 oIdx=0 buffer=2 iui=0
_ds_load_u8 v[vgprValuB_X2_I0+1], v[vgprLocalReadAddrB] offset:800 // L -> Reg lro=768 swapByteOffset=0 ti=32 vIdx=1 rIdx=0 oIdx=0 buffer=2 iui=0
_ds_load_u8 v62, v[vgprLocalReadAddrB] offset:896  // L -> Reg lro=768 swapByteOffset=0 ti=32 vIdx=1 rIdx=1 oIdx=0 buffer=2 iui=0
s_waitcnt lgkmcnt(6)                               // lgkmcnt=0 vmcnt=-1wait for prior local read local write old=0, new=6 newLW=0 newLR=6
/* pack scheduling: packAIdx:0, packBIdx:3 */
_v_lshl_or_b32 v[vgprValuB_X1_I0+0], v68, 0x8, v[vgprValuB_X1_I0+0] // pack two int8 Vgpr to one half Vgpr
_v_lshl_or_b32 v69, v70, 0x8, v69                  // pack two int8 Vgpr to one half Vgpr
v_or_b32 v[vgprValuB_X1_I0+0], v[vgprValuB_X1_I0+0], v69 // pack two half Vgpr to one Vgpr
_v_lshl_or_b32 v[vgprValuB_X1_I0+1], v71, 0x8, v[vgprValuB_X1_I0+1] // pack two int8 Vgpr to one half Vgpr
_v_lshl_or_b32 v72, v73, 0x8, v72                  // pack two int8 Vgpr to one half Vgpr
v_or_b32 v[vgprValuB_X1_I0+1], v[vgprValuB_X1_I0+1], v72 // pack two half Vgpr to one Vgpr
v_mfma_i32_32x32x8i8 a[0+0:15+0], v[vgprValuA_X0_I0+0+1+0], v[vgprValuB_X1_I0+0+0+0], a[0:15]
/*  mfmaIndex:4  */
_ds_load_u8_d16_hi v63, v[vgprLocalReadAddrB] offset:992 // L -> Reg lro=768 swapByteOffset=0 ti=32 vIdx=1 rIdx=2 oIdx=0 buffer=2 iui=0
_ds_load_u8_d16_hi v64, v[vgprLocalReadAddrB] offset:1088 // L -> Reg lro=768 swapByteOffset=0 ti=32 vIdx=1 rIdx=3 oIdx=0 buffer=2 iui=0
_ds_load_u8 v[vgprValuB_X2_I0+2], v[vgprLocalReadAddrB] offset:832 // L -> Reg lro=768 swapByteOffset=0 ti=32 vIdx=2 rIdx=0 oIdx=0 buffer=2 iui=0
_ds_load_u8 v65, v[vgprLocalReadAddrB] offset:928  // L -> Reg lro=768 swapByteOffset=0 ti=32 vIdx=2 rIdx=1 oIdx=0 buffer=2 iui=0
_ds_load_u8_d16_hi v66, v[vgprLocalReadAddrB] offset:1024 // L -> Reg lro=768 swapByteOffset=0 ti=32 vIdx=2 rIdx=2 oIdx=0 buffer=2 iui=0
_ds_load_u8_d16_hi v67, v[vgprLocalReadAddrB] offset:1120 // L -> Reg lro=768 swapByteOffset=0 ti=32 vIdx=2 rIdx=3 oIdx=0 buffer=2 iui=0
/* localReadsVacancy: latencyLeft 1 */
/* pack scheduling: packAIdx:0, packBIdx:6 */
_v_lshl_or_b32 v[vgprValuB_X1_I0+2], v74, 0x8, v[vgprValuB_X1_I0+2] // pack two int8 Vgpr to one half Vgpr
_v_lshl_or_b32 v75, v76, 0x8, v75                  // pack two int8 Vgpr to one half Vgpr
v_or_b32 v[vgprValuB_X1_I0+2], v[vgprValuB_X1_I0+2], v75 // pack two half Vgpr to one Vgpr
v_mfma_i32_32x32x8i8 a[16+0:31+0], v[vgprValuA_X0_I0+0+1+0], v[vgprValuB_X1_I0+1+0+0], a[16:31]
/*  mfmaIndex:5  */
/* localReadsVacancy: latencyLeft 13 */
_ds_load_u8 v[vgprValuB_X3_I0+0], v[vgprLocalReadAddrB] offset:1152 // L -> Reg lro=1152 swapByteOffset=0 ti=32 vIdx=0 rIdx=0 oIdx=0 buffer=3 iui=0
_ds_load_u8 v[vgprValuB_X3_I0+1], v[vgprLocalReadAddrB] offset:1184 // L -> Reg lro=1152 swapByteOffset=0 ti=32 vIdx=1 rIdx=0 oIdx=0 buffer=3 iui=0
	;; [unrolled: 1-line block ×3, first 2 shown]
_ds_load_u8 v[vgprValuB_X4_I0+0], v[vgprLocalReadAddrB] offset:3072 // L -> Reg lro=3072 swapByteOffset=0 ti=32 vIdx=0 rIdx=0 oIdx=0 buffer=4 iui=0
_ds_load_u8 v[vgprValuB_X4_I0+1], v[vgprLocalReadAddrB] offset:3104 // L -> Reg lro=3072 swapByteOffset=0 ti=32 vIdx=1 rIdx=0 oIdx=0 buffer=4 iui=0
	;; [unrolled: 1-line block ×3, first 2 shown]
v_mfma_i32_32x32x8i8 a[32+0:47+0], v[vgprValuA_X0_I0+0+1+0], v[vgprValuB_X1_I0+2+0+0], a[32:47]
/* numPrefetchIter=0 */
/* dataAtIterA=-1 numReadsIterA=1 skipReadsIterA=0 readsPerIterA=1 */
/* dataAtIterB=0 numReadsIterB=2 skipReadsIterB=1 readsPerIterB=12 */


/* iter 2 (last unrolled loop) */

/*  grEndMfmaIndex:0, lwStartMfmaIndex:20, lwEndMfmaIndex:20  */
/*  numMfmaForLR:2, barrierMfmaIndex:21, LocalWritePerMfma:0.395 */
/*  mfmaIndex:6  */
_ds_load_u8 v68, v[vgprLocalReadAddrB] offset:1248 // L -> Reg lro=1152 swapByteOffset=0 ti=32 vIdx=0 rIdx=1 oIdx=0 buffer=3 iui=0
_ds_load_u8_d16_hi v69, v[vgprLocalReadAddrB] offset:1344 // L -> Reg lro=1152 swapByteOffset=0 ti=32 vIdx=0 rIdx=2 oIdx=0 buffer=3 iui=0
_ds_load_u8_d16_hi v70, v[vgprLocalReadAddrB] offset:1440 // L -> Reg lro=1152 swapByteOffset=0 ti=32 vIdx=0 rIdx=3 oIdx=0 buffer=3 iui=0
_ds_load_u8 v71, v[vgprLocalReadAddrB] offset:1280 // L -> Reg lro=1152 swapByteOffset=0 ti=32 vIdx=1 rIdx=1 oIdx=0 buffer=3 iui=0
_ds_load_u8_d16_hi v72, v[vgprLocalReadAddrB] offset:1376 // L -> Reg lro=1152 swapByteOffset=0 ti=32 vIdx=1 rIdx=2 oIdx=0 buffer=3 iui=0
_ds_load_u8_d16_hi v73, v[vgprLocalReadAddrB] offset:1472 // L -> Reg lro=1152 swapByteOffset=0 ti=32 vIdx=1 rIdx=3 oIdx=0 buffer=3 iui=0
s_waitcnt lgkmcnt(12)                              // lgkmcnt=0 vmcnt=-1wait for prior local read local write old=3, new=9 newLW=0 newLR=6
/* pack scheduling: packAIdx:0, packBIdx:3 */
_v_lshl_or_b32 v[vgprValuB_X2_I0+0], v59, 0x8, v[vgprValuB_X2_I0+0] // pack two int8 Vgpr to one half Vgpr
_v_lshl_or_b32 v60, v61, 0x8, v60                  // pack two int8 Vgpr to one half Vgpr
v_or_b32 v[vgprValuB_X2_I0+0], v[vgprValuB_X2_I0+0], v60 // pack two half Vgpr to one Vgpr
_v_lshl_or_b32 v[vgprValuB_X2_I0+1], v62, 0x8, v[vgprValuB_X2_I0+1] // pack two int8 Vgpr to one half Vgpr
_v_lshl_or_b32 v63, v64, 0x8, v63                  // pack two int8 Vgpr to one half Vgpr
v_or_b32 v[vgprValuB_X2_I0+1], v[vgprValuB_X2_I0+1], v63 // pack two half Vgpr to one Vgpr
v_mfma_i32_32x32x8i8 a[0+0:15+0], v[vgprValuA_X0_I0+0+2+0], v[vgprValuB_X2_I0+0+0+0], a[0:15]
/*  mfmaIndex:7  */
_ds_load_u8 v74, v[vgprLocalReadAddrB] offset:1312 // L -> Reg lro=1152 swapByteOffset=0 ti=32 vIdx=2 rIdx=1 oIdx=0 buffer=3 iui=0
_ds_load_u8_d16_hi v75, v[vgprLocalReadAddrB] offset:1408 // L -> Reg lro=1152 swapByteOffset=0 ti=32 vIdx=2 rIdx=2 oIdx=0 buffer=3 iui=0
_ds_load_u8_d16_hi v76, v[vgprLocalReadAddrB] offset:1504 // L -> Reg lro=1152 swapByteOffset=0 ti=32 vIdx=2 rIdx=3 oIdx=0 buffer=3 iui=0
/* localReadsVacancy: latencyLeft 7 */
_ds_load_u8 v[vgprValuB_X5_I0+0], v[vgprLocalReadAddrB] offset:3456 // L -> Reg lro=3456 swapByteOffset=0 ti=32 vIdx=0 rIdx=0 oIdx=0 buffer=5 iui=0
_ds_load_u8 v[vgprValuB_X5_I0+1], v[vgprLocalReadAddrB] offset:3488 // L -> Reg lro=3456 swapByteOffset=0 ti=32 vIdx=1 rIdx=0 oIdx=0 buffer=5 iui=0
_ds_load_u8 v[vgprValuB_X5_I0+2], v[vgprLocalReadAddrB] offset:3520 // L -> Reg lro=3456 swapByteOffset=0 ti=32 vIdx=2 rIdx=0 oIdx=0 buffer=5 iui=0
/* pack scheduling: packAIdx:0, packBIdx:6 */
_v_lshl_or_b32 v[vgprValuB_X2_I0+2], v65, 0x8, v[vgprValuB_X2_I0+2] // pack two int8 Vgpr to one half Vgpr
_v_lshl_or_b32 v66, v67, 0x8, v66                  // pack two int8 Vgpr to one half Vgpr
v_or_b32 v[vgprValuB_X2_I0+2], v[vgprValuB_X2_I0+2], v66 // pack two half Vgpr to one Vgpr
v_mfma_i32_32x32x8i8 a[16+0:31+0], v[vgprValuA_X0_I0+0+2+0], v[vgprValuB_X2_I0+1+0+0], a[16:31]
/*  mfmaIndex:8  */
/* localReadsVacancy: latencyLeft 13 */
_ds_load_u8 v[vgprValuB_X6_I0+0], v[vgprLocalReadAddrB] offset:3840 // L -> Reg lro=3840 swapByteOffset=0 ti=32 vIdx=0 rIdx=0 oIdx=0 buffer=6 iui=0
_ds_load_u8 v[vgprValuB_X6_I0+1], v[vgprLocalReadAddrB] offset:3872 // L -> Reg lro=3840 swapByteOffset=0 ti=32 vIdx=1 rIdx=0 oIdx=0 buffer=6 iui=0
	;; [unrolled: 1-line block ×3, first 2 shown]
_ds_load_u8 v[vgprValuB_X7_I0+0], v[vgprLocalReadAddrB] offset:4224 // L -> Reg lro=4224 swapByteOffset=0 ti=32 vIdx=0 rIdx=0 oIdx=0 buffer=7 iui=0
_ds_load_u8 v[vgprValuB_X7_I0+1], v[vgprLocalReadAddrB] offset:4256 // L -> Reg lro=4224 swapByteOffset=0 ti=32 vIdx=1 rIdx=0 oIdx=0 buffer=7 iui=0
	;; [unrolled: 1-line block ×3, first 2 shown]
v_mfma_i32_32x32x8i8 a[32+0:47+0], v[vgprValuA_X0_I0+0+2+0], v[vgprValuB_X2_I0+2+0+0], a[32:47]
/* numPrefetchIter=0 */
/* dataAtIterA=-1 numReadsIterA=1 skipReadsIterA=0 readsPerIterA=1 */
/* dataAtIterB=1 numReadsIterB=3 skipReadsIterB=1 readsPerIterB=12 */


/* iter 3 (last unrolled loop) */

/*  grEndMfmaIndex:0, lwStartMfmaIndex:20, lwEndMfmaIndex:20  */
/*  numMfmaForLR:2, barrierMfmaIndex:21, LocalWritePerMfma:0.395 */
/*  mfmaIndex:9  */
_ds_load_u8 v59, v[vgprLocalReadAddrB] offset:3168 // L -> Reg lro=3072 swapByteOffset=0 ti=32 vIdx=0 rIdx=1 oIdx=0 buffer=4 iui=0
_ds_load_u8_d16_hi v60, v[vgprLocalReadAddrB] offset:3264 // L -> Reg lro=3072 swapByteOffset=0 ti=32 vIdx=0 rIdx=2 oIdx=0 buffer=4 iui=0
_ds_load_u8_d16_hi v61, v[vgprLocalReadAddrB] offset:3360 // L -> Reg lro=3072 swapByteOffset=0 ti=32 vIdx=0 rIdx=3 oIdx=0 buffer=4 iui=0
_ds_load_u8 v62, v[vgprLocalReadAddrB] offset:3200 // L -> Reg lro=3072 swapByteOffset=0 ti=32 vIdx=1 rIdx=1 oIdx=0 buffer=4 iui=0
_ds_load_u8_d16_hi v63, v[vgprLocalReadAddrB] offset:3296 // L -> Reg lro=3072 swapByteOffset=0 ti=32 vIdx=1 rIdx=2 oIdx=0 buffer=4 iui=0
_ds_load_u8_d16_hi v64, v[vgprLocalReadAddrB] offset:3392 // L -> Reg lro=3072 swapByteOffset=0 ti=32 vIdx=1 rIdx=3 oIdx=0 buffer=4 iui=0
s_waitcnt lgkmcnt(15)                              // lgkmcnt=0 vmcnt=-1wait for prior local read local write old=0, new=6 newLW=0 newLR=6
/* pack scheduling: packAIdx:0, packBIdx:3 */
_v_lshl_or_b32 v[vgprValuB_X3_I0+0], v68, 0x8, v[vgprValuB_X3_I0+0] // pack two int8 Vgpr to one half Vgpr
_v_lshl_or_b32 v69, v70, 0x8, v69                  // pack two int8 Vgpr to one half Vgpr
v_or_b32 v[vgprValuB_X3_I0+0], v[vgprValuB_X3_I0+0], v69 // pack two half Vgpr to one Vgpr
_v_lshl_or_b32 v[vgprValuB_X3_I0+1], v71, 0x8, v[vgprValuB_X3_I0+1] // pack two int8 Vgpr to one half Vgpr
_v_lshl_or_b32 v72, v73, 0x8, v72                  // pack two int8 Vgpr to one half Vgpr
v_or_b32 v[vgprValuB_X3_I0+1], v[vgprValuB_X3_I0+1], v72 // pack two half Vgpr to one Vgpr
v_mfma_i32_32x32x8i8 a[0+0:15+0], v[vgprValuA_X0_I0+0+3+0], v[vgprValuB_X3_I0+0+0+0], a[0:15]
/*  mfmaIndex:10  */
_ds_load_u8 v65, v[vgprLocalReadAddrB] offset:3232 // L -> Reg lro=3072 swapByteOffset=0 ti=32 vIdx=2 rIdx=1 oIdx=0 buffer=4 iui=0
_ds_load_u8_d16_hi v66, v[vgprLocalReadAddrB] offset:3328 // L -> Reg lro=3072 swapByteOffset=0 ti=32 vIdx=2 rIdx=2 oIdx=0 buffer=4 iui=0
_ds_load_u8_d16_hi v67, v[vgprLocalReadAddrB] offset:3424 // L -> Reg lro=3072 swapByteOffset=0 ti=32 vIdx=2 rIdx=3 oIdx=0 buffer=4 iui=0
/* localReadsVacancy: latencyLeft 7 */
/* pack scheduling: packAIdx:0, packBIdx:6 */
_v_lshl_or_b32 v[vgprValuB_X3_I0+2], v74, 0x8, v[vgprValuB_X3_I0+2] // pack two int8 Vgpr to one half Vgpr
_v_lshl_or_b32 v75, v76, 0x8, v75                  // pack two int8 Vgpr to one half Vgpr
v_or_b32 v[vgprValuB_X3_I0+2], v[vgprValuB_X3_I0+2], v75 // pack two half Vgpr to one Vgpr
v_mfma_i32_32x32x8i8 a[16+0:31+0], v[vgprValuA_X0_I0+0+3+0], v[vgprValuB_X3_I0+1+0+0], a[16:31]
/*  mfmaIndex:11  */
/* localReadsVacancy: latencyLeft 13 */
v_mfma_i32_32x32x8i8 a[32+0:47+0], v[vgprValuA_X0_I0+0+3+0], v[vgprValuB_X3_I0+2+0+0], a[32:47]
/* numPrefetchIter=0 */
/* dataAtIterA=-1 numReadsIterA=1 skipReadsIterA=0 readsPerIterA=1 */
/* dataAtIterB=2 numReadsIterB=4 skipReadsIterB=1 readsPerIterB=12 */


/* iter 4 (last unrolled loop) */

/*  grEndMfmaIndex:0, lwStartMfmaIndex:20, lwEndMfmaIndex:20  */
/*  numMfmaForLR:2, barrierMfmaIndex:21, LocalWritePerMfma:0.395 */
/*  mfmaIndex:12  */
_ds_load_u8 v68, v[vgprLocalReadAddrB] offset:3552 // L -> Reg lro=3456 swapByteOffset=0 ti=32 vIdx=0 rIdx=1 oIdx=0 buffer=5 iui=0
_ds_load_u8_d16_hi v69, v[vgprLocalReadAddrB] offset:3648 // L -> Reg lro=3456 swapByteOffset=0 ti=32 vIdx=0 rIdx=2 oIdx=0 buffer=5 iui=0
_ds_load_u8_d16_hi v70, v[vgprLocalReadAddrB] offset:3744 // L -> Reg lro=3456 swapByteOffset=0 ti=32 vIdx=0 rIdx=3 oIdx=0 buffer=5 iui=0
_ds_load_u8 v71, v[vgprLocalReadAddrB] offset:3584 // L -> Reg lro=3456 swapByteOffset=0 ti=32 vIdx=1 rIdx=1 oIdx=0 buffer=5 iui=0
_ds_load_u8_d16_hi v72, v[vgprLocalReadAddrB] offset:3680 // L -> Reg lro=3456 swapByteOffset=0 ti=32 vIdx=1 rIdx=2 oIdx=0 buffer=5 iui=0
_ds_load_u8_d16_hi v73, v[vgprLocalReadAddrB] offset:3776 // L -> Reg lro=3456 swapByteOffset=0 ti=32 vIdx=1 rIdx=3 oIdx=0 buffer=5 iui=0
s_waitcnt lgkmcnt(6)                               // lgkmcnt=0 vmcnt=-1wait for prior local read local write old=0, new=6 newLW=0 newLR=6
/* pack scheduling: packAIdx:0, packBIdx:3 */
_v_lshl_or_b32 v[vgprValuB_X4_I0+0], v59, 0x8, v[vgprValuB_X4_I0+0] // pack two int8 Vgpr to one half Vgpr
_v_lshl_or_b32 v60, v61, 0x8, v60                  // pack two int8 Vgpr to one half Vgpr
v_or_b32 v[vgprValuB_X4_I0+0], v[vgprValuB_X4_I0+0], v60 // pack two half Vgpr to one Vgpr
_v_lshl_or_b32 v[vgprValuB_X4_I0+1], v62, 0x8, v[vgprValuB_X4_I0+1] // pack two int8 Vgpr to one half Vgpr
_v_lshl_or_b32 v63, v64, 0x8, v63                  // pack two int8 Vgpr to one half Vgpr
v_or_b32 v[vgprValuB_X4_I0+1], v[vgprValuB_X4_I0+1], v63 // pack two half Vgpr to one Vgpr
v_mfma_i32_32x32x8i8 a[0+0:15+0], v[vgprValuA_X4_I0+0+0+0], v[vgprValuB_X4_I0+0+0+0], a[0:15]
/*  mfmaIndex:13  */
_ds_load_u8 v74, v[vgprLocalReadAddrB] offset:3616 // L -> Reg lro=3456 swapByteOffset=0 ti=32 vIdx=2 rIdx=1 oIdx=0 buffer=5 iui=0
_ds_load_u8_d16_hi v75, v[vgprLocalReadAddrB] offset:3712 // L -> Reg lro=3456 swapByteOffset=0 ti=32 vIdx=2 rIdx=2 oIdx=0 buffer=5 iui=0
_ds_load_u8_d16_hi v76, v[vgprLocalReadAddrB] offset:3808 // L -> Reg lro=3456 swapByteOffset=0 ti=32 vIdx=2 rIdx=3 oIdx=0 buffer=5 iui=0
/* localReadsVacancy: latencyLeft 7 */
/* pack scheduling: packAIdx:0, packBIdx:6 */
_v_lshl_or_b32 v[vgprValuB_X4_I0+2], v65, 0x8, v[vgprValuB_X4_I0+2] // pack two int8 Vgpr to one half Vgpr
_v_lshl_or_b32 v66, v67, 0x8, v66                  // pack two int8 Vgpr to one half Vgpr
v_or_b32 v[vgprValuB_X4_I0+2], v[vgprValuB_X4_I0+2], v66 // pack two half Vgpr to one Vgpr
v_mfma_i32_32x32x8i8 a[16+0:31+0], v[vgprValuA_X4_I0+0+0+0], v[vgprValuB_X4_I0+1+0+0], a[16:31]
/*  mfmaIndex:14  */
/* localReadsVacancy: latencyLeft 13 */
v_mfma_i32_32x32x8i8 a[32+0:47+0], v[vgprValuA_X4_I0+0+0+0], v[vgprValuB_X4_I0+2+0+0], a[32:47]
/* numPrefetchIter=0 */
/* dataAtIterA=0 numReadsIterA=1 skipReadsIterA=0 readsPerIterA=1 */
/* dataAtIterB=3 numReadsIterB=5 skipReadsIterB=1 readsPerIterB=12 */


/* iter 5 (last unrolled loop) */

/*  grEndMfmaIndex:0, lwStartMfmaIndex:20, lwEndMfmaIndex:20  */
/*  numMfmaForLR:2, barrierMfmaIndex:21, LocalWritePerMfma:0.395 */
/*  mfmaIndex:15  */
_ds_load_u8 v59, v[vgprLocalReadAddrB] offset:3936 // L -> Reg lro=3840 swapByteOffset=0 ti=32 vIdx=0 rIdx=1 oIdx=0 buffer=6 iui=0
_ds_load_u8_d16_hi v60, v[vgprLocalReadAddrB] offset:4032 // L -> Reg lro=3840 swapByteOffset=0 ti=32 vIdx=0 rIdx=2 oIdx=0 buffer=6 iui=0
_ds_load_u8_d16_hi v61, v[vgprLocalReadAddrB] offset:4128 // L -> Reg lro=3840 swapByteOffset=0 ti=32 vIdx=0 rIdx=3 oIdx=0 buffer=6 iui=0
_ds_load_u8 v62, v[vgprLocalReadAddrB] offset:3968 // L -> Reg lro=3840 swapByteOffset=0 ti=32 vIdx=1 rIdx=1 oIdx=0 buffer=6 iui=0
_ds_load_u8_d16_hi v63, v[vgprLocalReadAddrB] offset:4064 // L -> Reg lro=3840 swapByteOffset=0 ti=32 vIdx=1 rIdx=2 oIdx=0 buffer=6 iui=0
_ds_load_u8_d16_hi v64, v[vgprLocalReadAddrB] offset:4160 // L -> Reg lro=3840 swapByteOffset=0 ti=32 vIdx=1 rIdx=3 oIdx=0 buffer=6 iui=0
s_waitcnt lgkmcnt(6)                               // lgkmcnt=0 vmcnt=-1wait for prior local read local write old=0, new=6 newLW=0 newLR=6
/* pack scheduling: packAIdx:0, packBIdx:3 */
_v_lshl_or_b32 v[vgprValuB_X5_I0+0], v68, 0x8, v[vgprValuB_X5_I0+0] // pack two int8 Vgpr to one half Vgpr
_v_lshl_or_b32 v69, v70, 0x8, v69                  // pack two int8 Vgpr to one half Vgpr
v_or_b32 v[vgprValuB_X5_I0+0], v[vgprValuB_X5_I0+0], v69 // pack two half Vgpr to one Vgpr
_v_lshl_or_b32 v[vgprValuB_X5_I0+1], v71, 0x8, v[vgprValuB_X5_I0+1] // pack two int8 Vgpr to one half Vgpr
_v_lshl_or_b32 v72, v73, 0x8, v72                  // pack two int8 Vgpr to one half Vgpr
v_or_b32 v[vgprValuB_X5_I0+1], v[vgprValuB_X5_I0+1], v72 // pack two half Vgpr to one Vgpr
v_mfma_i32_32x32x8i8 a[0+0:15+0], v[vgprValuA_X4_I0+0+1+0], v[vgprValuB_X5_I0+0+0+0], a[0:15]
/*  mfmaIndex:16  */
_ds_load_u8 v65, v[vgprLocalReadAddrB] offset:4000 // L -> Reg lro=3840 swapByteOffset=0 ti=32 vIdx=2 rIdx=1 oIdx=0 buffer=6 iui=0
_ds_load_u8_d16_hi v66, v[vgprLocalReadAddrB] offset:4096 // L -> Reg lro=3840 swapByteOffset=0 ti=32 vIdx=2 rIdx=2 oIdx=0 buffer=6 iui=0
_ds_load_u8_d16_hi v67, v[vgprLocalReadAddrB] offset:4192 // L -> Reg lro=3840 swapByteOffset=0 ti=32 vIdx=2 rIdx=3 oIdx=0 buffer=6 iui=0
/* localReadsVacancy: latencyLeft 7 */
/* pack scheduling: packAIdx:0, packBIdx:6 */
_v_lshl_or_b32 v[vgprValuB_X5_I0+2], v74, 0x8, v[vgprValuB_X5_I0+2] // pack two int8 Vgpr to one half Vgpr
_v_lshl_or_b32 v75, v76, 0x8, v75                  // pack two int8 Vgpr to one half Vgpr
v_or_b32 v[vgprValuB_X5_I0+2], v[vgprValuB_X5_I0+2], v75 // pack two half Vgpr to one Vgpr
v_mfma_i32_32x32x8i8 a[16+0:31+0], v[vgprValuA_X4_I0+0+1+0], v[vgprValuB_X5_I0+1+0+0], a[16:31]
/*  mfmaIndex:17  */
/* localReadsVacancy: latencyLeft 13 */
v_mfma_i32_32x32x8i8 a[32+0:47+0], v[vgprValuA_X4_I0+0+1+0], v[vgprValuB_X5_I0+2+0+0], a[32:47]
/* numPrefetchIter=0 */
/* dataAtIterA=0 numReadsIterA=1 skipReadsIterA=0 readsPerIterA=1 */
/* dataAtIterB=4 numReadsIterB=6 skipReadsIterB=1 readsPerIterB=12 */


/* iter 6 (last unrolled loop) */

/*  grEndMfmaIndex:0, lwStartMfmaIndex:20, lwEndMfmaIndex:20  */
/*  numMfmaForLR:2, barrierMfmaIndex:21, LocalWritePerMfma:0.395 */
/*  mfmaIndex:18  */
_ds_load_u8 v68, v[vgprLocalReadAddrB] offset:4320 // L -> Reg lro=4224 swapByteOffset=0 ti=32 vIdx=0 rIdx=1 oIdx=0 buffer=7 iui=0
_ds_load_u8_d16_hi v69, v[vgprLocalReadAddrB] offset:4416 // L -> Reg lro=4224 swapByteOffset=0 ti=32 vIdx=0 rIdx=2 oIdx=0 buffer=7 iui=0
_ds_load_u8_d16_hi v70, v[vgprLocalReadAddrB] offset:4512 // L -> Reg lro=4224 swapByteOffset=0 ti=32 vIdx=0 rIdx=3 oIdx=0 buffer=7 iui=0
_ds_load_u8 v71, v[vgprLocalReadAddrB] offset:4352 // L -> Reg lro=4224 swapByteOffset=0 ti=32 vIdx=1 rIdx=1 oIdx=0 buffer=7 iui=0
_ds_load_u8_d16_hi v72, v[vgprLocalReadAddrB] offset:4448 // L -> Reg lro=4224 swapByteOffset=0 ti=32 vIdx=1 rIdx=2 oIdx=0 buffer=7 iui=0
_ds_load_u8_d16_hi v73, v[vgprLocalReadAddrB] offset:4544 // L -> Reg lro=4224 swapByteOffset=0 ti=32 vIdx=1 rIdx=3 oIdx=0 buffer=7 iui=0
s_waitcnt lgkmcnt(6)                               // lgkmcnt=0 vmcnt=-1wait for prior local read local write old=0, new=6 newLW=0 newLR=6
/* pack scheduling: packAIdx:0, packBIdx:3 */
_v_lshl_or_b32 v[vgprValuB_X6_I0+0], v59, 0x8, v[vgprValuB_X6_I0+0] // pack two int8 Vgpr to one half Vgpr
_v_lshl_or_b32 v60, v61, 0x8, v60                  // pack two int8 Vgpr to one half Vgpr
v_or_b32 v[vgprValuB_X6_I0+0], v[vgprValuB_X6_I0+0], v60 // pack two half Vgpr to one Vgpr
_v_lshl_or_b32 v[vgprValuB_X6_I0+1], v62, 0x8, v[vgprValuB_X6_I0+1] // pack two int8 Vgpr to one half Vgpr
_v_lshl_or_b32 v63, v64, 0x8, v63                  // pack two int8 Vgpr to one half Vgpr
v_or_b32 v[vgprValuB_X6_I0+1], v[vgprValuB_X6_I0+1], v63 // pack two half Vgpr to one Vgpr
v_mfma_i32_32x32x8i8 a[0+0:15+0], v[vgprValuA_X4_I0+0+2+0], v[vgprValuB_X6_I0+0+0+0], a[0:15]
/*  mfmaIndex:19  */
_ds_load_u8 v74, v[vgprLocalReadAddrB] offset:4384 // L -> Reg lro=4224 swapByteOffset=0 ti=32 vIdx=2 rIdx=1 oIdx=0 buffer=7 iui=0
_ds_load_u8_d16_hi v75, v[vgprLocalReadAddrB] offset:4480 // L -> Reg lro=4224 swapByteOffset=0 ti=32 vIdx=2 rIdx=2 oIdx=0 buffer=7 iui=0
_ds_load_u8_d16_hi v76, v[vgprLocalReadAddrB] offset:4576 // L -> Reg lro=4224 swapByteOffset=0 ti=32 vIdx=2 rIdx=3 oIdx=0 buffer=7 iui=0
/* localReadsVacancy: latencyLeft 7 */
/* pack scheduling: packAIdx:0, packBIdx:6 */
_v_lshl_or_b32 v[vgprValuB_X6_I0+2], v65, 0x8, v[vgprValuB_X6_I0+2] // pack two int8 Vgpr to one half Vgpr
_v_lshl_or_b32 v66, v67, 0x8, v66                  // pack two int8 Vgpr to one half Vgpr
v_or_b32 v[vgprValuB_X6_I0+2], v[vgprValuB_X6_I0+2], v66 // pack two half Vgpr to one Vgpr
v_mfma_i32_32x32x8i8 a[16+0:31+0], v[vgprValuA_X4_I0+0+2+0], v[vgprValuB_X6_I0+1+0+0], a[16:31]
/*  mfmaIndex:20  */
/* localReadsVacancy: latencyLeft 13 */
v_mfma_i32_32x32x8i8 a[32+0:47+0], v[vgprValuA_X4_I0+0+2+0], v[vgprValuB_X6_I0+2+0+0], a[32:47]
/* numPrefetchIter=0 */
/* dataAtIterA=0 numReadsIterA=1 skipReadsIterA=0 readsPerIterA=1 */
/* dataAtIterB=5 numReadsIterB=7 skipReadsIterB=1 readsPerIterB=12 */


/* iter 7 (last unrolled loop) */

/*  grEndMfmaIndex:0, lwStartMfmaIndex:20, lwEndMfmaIndex:20  */
/*  numMfmaForLR:2, barrierMfmaIndex:21, LocalWritePerMfma:0.395 */
/*  mfmaIndex:21  */
s_waitcnt lgkmcnt(0)                               // lgkmcnt=0 vmcnt=-1wait for prior local read local write old=0, new=0 newLW=0 newLR=0
/* pack scheduling: packAIdx:0, packBIdx:3 */
_v_lshl_or_b32 v[vgprValuB_X7_I0+0], v68, 0x8, v[vgprValuB_X7_I0+0] // pack two int8 Vgpr to one half Vgpr
_v_lshl_or_b32 v69, v70, 0x8, v69                  // pack two int8 Vgpr to one half Vgpr
v_or_b32 v[vgprValuB_X7_I0+0], v[vgprValuB_X7_I0+0], v69 // pack two half Vgpr to one Vgpr
_v_lshl_or_b32 v[vgprValuB_X7_I0+1], v71, 0x8, v[vgprValuB_X7_I0+1] // pack two int8 Vgpr to one half Vgpr
_v_lshl_or_b32 v72, v73, 0x8, v72                  // pack two int8 Vgpr to one half Vgpr
v_or_b32 v[vgprValuB_X7_I0+1], v[vgprValuB_X7_I0+1], v72 // pack two half Vgpr to one Vgpr
v_mfma_i32_32x32x8i8 a[0+0:15+0], v[vgprValuA_X4_I0+0+3+0], v[vgprValuB_X7_I0+0+0+0], a[0:15]
/*  mfmaIndex:22  */
/* pack scheduling: packAIdx:0, packBIdx:6 */
_v_lshl_or_b32 v[vgprValuB_X7_I0+2], v74, 0x8, v[vgprValuB_X7_I0+2] // pack two int8 Vgpr to one half Vgpr
_v_lshl_or_b32 v75, v76, 0x8, v75                  // pack two int8 Vgpr to one half Vgpr
v_or_b32 v[vgprValuB_X7_I0+2], v[vgprValuB_X7_I0+2], v75 // pack two half Vgpr to one Vgpr
v_mfma_i32_32x32x8i8 a[16+0:31+0], v[vgprValuA_X4_I0+0+3+0], v[vgprValuB_X7_I0+1+0+0], a[16:31]
/*  mfmaIndex:23  */
v_mfma_i32_32x32x8i8 a[32+0:47+0], v[vgprValuA_X4_I0+0+3+0], v[vgprValuB_X7_I0+2+0+0], a[32:47]
/* numPrefetchIter=0 */
/* dataAtIterA=0 numReadsIterA=1 skipReadsIterA=0 readsPerIterA=1 */
/* dataAtIterB=6 numReadsIterB=7 skipReadsIterB=0 readsPerIterB=12 */

PrefetchGlobalLastIterEnd_5:


/******************************************/
/* Tail Loop                              */
/******************************************/


/* local write reset offsets a */

v_and_b32 v[vgprLocalWriteAddrA], 0xf03fff, v[vgprLocalWriteAddrA] // reset to Red


/* local write reset offsets b */

v_and_b32 v[vgprLocalWriteAddrB], 0xf03fff, v[vgprLocalWriteAddrB] // reset to Red


//numIterL = (((sizeL % LOCAL_DEPTHU) + LOCAL_SPLITU - 1) / LOCAL_SPLITU)
s_and_b32 s[sgprLoopCounterL], 63, s[sgprSizesSum+0] // s[sgprLoopCounterL] = s[sgprSizesSum+0] % 64
s_cmp_eq_u32 s[sgprLoopCounterL], 0x0              // numIterL == 0
s_cbranch_scc1 SkipTailLoopL_8                     // skip to end of tail loop b/c numIter==0
s_mov_b32 s[sgprOrigLoopCounter], 0                // repurpose to count each localRead increment


/* Update M0 for DTLDS */


	;; [unrolled: 1-line block ×3, first 2 shown]
/* global read a */

/* g2l=0, load component 0 */
_buffer_load_d16_u8 v[vgprG2LA+0+0], v[vgprGlobalReadOffsetA+0], s[sgprSrdA:sgprSrdA+3], 0, offen offset:0 // load one buffer value
/* g2l=0, load component 1 */
_buffer_load_d16_u8 v59, v[vgprGlobalReadOffsetA+0], s[sgprSrdA:sgprSrdA+3], 0, offen offset:1 // load one buffer value
/* g2l=0, load component 2 */
_buffer_load_d16_hi_u8 v60, v[vgprGlobalReadOffsetA+0], s[sgprSrdA:sgprSrdA+3], 0, offen offset:2 // load one buffer value
/* g2l=0, load component 3 */
_buffer_load_d16_hi_u8 v61, v[vgprGlobalReadOffsetA+0], s[sgprSrdA:sgprSrdA+3], 0, offen offset:3 // load one buffer value
/* g2l=0, load component 4 */
_buffer_load_d16_u8 v[vgprG2LA+0+1], v[vgprGlobalReadOffsetA+0], s[sgprSrdA:sgprSrdA+3], 0, offen offset:4 // load one buffer value
/* g2l=0, load component 5 */
_buffer_load_d16_u8 v63, v[vgprGlobalReadOffsetA+0], s[sgprSrdA:sgprSrdA+3], 0, offen offset:5 // load one buffer value
/* g2l=0, load component 6 */
_buffer_load_d16_hi_u8 v64, v[vgprGlobalReadOffsetA+0], s[sgprSrdA:sgprSrdA+3], 0, offen offset:6 // load one buffer value
/* g2l=0, load component 7 */
_buffer_load_d16_hi_u8 v65, v[vgprGlobalReadOffsetA+0], s[sgprSrdA:sgprSrdA+3], 0, offen offset:7 // load one buffer value
s_waitcnt vmcnt(6)
v_lshlrev_b32 v59, 0x8, v59                        // shift left to higher 8 bits
v_or_b32 v[vgprG2LA+0+0], v[vgprG2LA+0+0], v59     // pack a sub 8-bit with dest
s_waitcnt vmcnt(5)
v_or_b32 v[vgprG2LA+0+0], v[vgprG2LA+0+0], v60     // pack a sub 8-bit with dest
s_waitcnt vmcnt(4)
v_lshlrev_b32 v61, 0x8, v61                        // shift left to higher 8 bits
v_or_b32 v[vgprG2LA+0+0], v[vgprG2LA+0+0], v61     // pack a sub 8-bit with dest
s_waitcnt vmcnt(2)
v_lshlrev_b32 v63, 0x8, v63                        // shift left to higher 8 bits
v_or_b32 v[vgprG2LA+0+1], v[vgprG2LA+0+1], v63     // pack a sub 8-bit with dest
s_waitcnt vmcnt(1)
v_or_b32 v[vgprG2LA+0+1], v[vgprG2LA+0+1], v64     // pack a sub 8-bit with dest
s_waitcnt vmcnt(0)
v_lshlrev_b32 v65, 0x8, v65                        // shift left to higher 8 bits
v_or_b32 v[vgprG2LA+0+1], v[vgprG2LA+0+1], v65     // pack a sub 8-bit with dest
/* g2l=2, load component 0 */
_buffer_load_d16_u8 v[vgprG2LA+2+0], v[vgprGlobalReadOffsetA+1], s[sgprSrdA:sgprSrdA+3], 0, offen offset:0 // load one buffer value
/* g2l=2, load component 1 */
_buffer_load_d16_u8 v59, v[vgprGlobalReadOffsetA+1], s[sgprSrdA:sgprSrdA+3], 0, offen offset:1 // load one buffer value
/* g2l=2, load component 2 */
_buffer_load_d16_hi_u8 v60, v[vgprGlobalReadOffsetA+1], s[sgprSrdA:sgprSrdA+3], 0, offen offset:2 // load one buffer value
/* g2l=2, load component 3 */
_buffer_load_d16_hi_u8 v61, v[vgprGlobalReadOffsetA+1], s[sgprSrdA:sgprSrdA+3], 0, offen offset:3 // load one buffer value
/* g2l=2, load component 4 */
_buffer_load_d16_u8 v[vgprG2LA+2+1], v[vgprGlobalReadOffsetA+1], s[sgprSrdA:sgprSrdA+3], 0, offen offset:4 // load one buffer value
/* g2l=2, load component 5 */
_buffer_load_d16_u8 v63, v[vgprGlobalReadOffsetA+1], s[sgprSrdA:sgprSrdA+3], 0, offen offset:5 // load one buffer value
/* g2l=2, load component 6 */
_buffer_load_d16_hi_u8 v64, v[vgprGlobalReadOffsetA+1], s[sgprSrdA:sgprSrdA+3], 0, offen offset:6 // load one buffer value
/* g2l=2, load component 7 */
_buffer_load_d16_hi_u8 v65, v[vgprGlobalReadOffsetA+1], s[sgprSrdA:sgprSrdA+3], 0, offen offset:7 // load one buffer value
s_waitcnt vmcnt(6)
v_lshlrev_b32 v59, 0x8, v59                        // shift left to higher 8 bits
v_or_b32 v[vgprG2LA+2+0], v[vgprG2LA+2+0], v59     // pack a sub 8-bit with dest
s_waitcnt vmcnt(5)
v_or_b32 v[vgprG2LA+2+0], v[vgprG2LA+2+0], v60     // pack a sub 8-bit with dest
s_waitcnt vmcnt(4)
v_lshlrev_b32 v61, 0x8, v61                        // shift left to higher 8 bits
v_or_b32 v[vgprG2LA+2+0], v[vgprG2LA+2+0], v61     // pack a sub 8-bit with dest
s_waitcnt vmcnt(2)
v_lshlrev_b32 v63, 0x8, v63                        // shift left to higher 8 bits
v_or_b32 v[vgprG2LA+2+1], v[vgprG2LA+2+1], v63     // pack a sub 8-bit with dest
s_waitcnt vmcnt(1)
v_or_b32 v[vgprG2LA+2+1], v[vgprG2LA+2+1], v64     // pack a sub 8-bit with dest
s_waitcnt vmcnt(0)
v_lshlrev_b32 v65, 0x8, v65                        // shift left to higher 8 bits
v_or_b32 v[vgprG2LA+2+1], v[vgprG2LA+2+1], v65     // pack a sub 8-bit with dest
	;; [unrolled: 32-line block ×4, first 2 shown]


/* Update M0 for DTLDS */


	;; [unrolled: 1-line block ×3, first 2 shown]
/* global read b */

/* g2l=0, load component 0 */
_buffer_load_d16_u8 v[vgprG2LB+0+0], v[vgprGlobalReadOffsetB+0], s[sgprSrdB:sgprSrdB+3], 0, offen offset:0 // load one buffer value
/* g2l=0, load component 1 */
_buffer_load_d16_u8 v59, v[vgprGlobalReadOffsetB+0], s[sgprSrdB:sgprSrdB+3], 0, offen offset:1 // load one buffer value
/* g2l=0, load component 2 */
_buffer_load_d16_hi_u8 v60, v[vgprGlobalReadOffsetB+0], s[sgprSrdB:sgprSrdB+3], 0, offen offset:2 // load one buffer value
/* g2l=0, load component 3 */
_buffer_load_d16_hi_u8 v61, v[vgprGlobalReadOffsetB+0], s[sgprSrdB:sgprSrdB+3], 0, offen offset:3 // load one buffer value
/* g2l=0, load component 4 */
_buffer_load_d16_u8 v[vgprG2LB+0+1], v[vgprGlobalReadOffsetB+0], s[sgprSrdB:sgprSrdB+3], 0, offen offset:4 // load one buffer value
/* g2l=0, load component 5 */
_buffer_load_d16_u8 v63, v[vgprGlobalReadOffsetB+0], s[sgprSrdB:sgprSrdB+3], 0, offen offset:5 // load one buffer value
/* g2l=0, load component 6 */
_buffer_load_d16_hi_u8 v64, v[vgprGlobalReadOffsetB+0], s[sgprSrdB:sgprSrdB+3], 0, offen offset:6 // load one buffer value
/* g2l=0, load component 7 */
_buffer_load_d16_hi_u8 v65, v[vgprGlobalReadOffsetB+0], s[sgprSrdB:sgprSrdB+3], 0, offen offset:7 // load one buffer value
s_waitcnt vmcnt(6)
v_lshlrev_b32 v59, 0x8, v59                        // shift left to higher 8 bits
v_or_b32 v[vgprG2LB+0+0], v[vgprG2LB+0+0], v59     // pack a sub 8-bit with dest
s_waitcnt vmcnt(5)
v_or_b32 v[vgprG2LB+0+0], v[vgprG2LB+0+0], v60     // pack a sub 8-bit with dest
s_waitcnt vmcnt(4)
v_lshlrev_b32 v61, 0x8, v61                        // shift left to higher 8 bits
v_or_b32 v[vgprG2LB+0+0], v[vgprG2LB+0+0], v61     // pack a sub 8-bit with dest
s_waitcnt vmcnt(2)
v_lshlrev_b32 v63, 0x8, v63                        // shift left to higher 8 bits
v_or_b32 v[vgprG2LB+0+1], v[vgprG2LB+0+1], v63     // pack a sub 8-bit with dest
s_waitcnt vmcnt(1)
v_or_b32 v[vgprG2LB+0+1], v[vgprG2LB+0+1], v64     // pack a sub 8-bit with dest
s_waitcnt vmcnt(0)
v_lshlrev_b32 v65, 0x8, v65                        // shift left to higher 8 bits
v_or_b32 v[vgprG2LB+0+1], v[vgprG2LB+0+1], v65     // pack a sub 8-bit with dest
/* g2l=2, load component 0 */
_buffer_load_d16_u8 v[vgprG2LB+2+0], v[vgprGlobalReadOffsetB+1], s[sgprSrdB:sgprSrdB+3], 0, offen offset:0 // load one buffer value
/* g2l=2, load component 1 */
_buffer_load_d16_u8 v59, v[vgprGlobalReadOffsetB+1], s[sgprSrdB:sgprSrdB+3], 0, offen offset:1 // load one buffer value
/* g2l=2, load component 2 */
_buffer_load_d16_hi_u8 v60, v[vgprGlobalReadOffsetB+1], s[sgprSrdB:sgprSrdB+3], 0, offen offset:2 // load one buffer value
/* g2l=2, load component 3 */
_buffer_load_d16_hi_u8 v61, v[vgprGlobalReadOffsetB+1], s[sgprSrdB:sgprSrdB+3], 0, offen offset:3 // load one buffer value
/* g2l=2, load component 4 */
_buffer_load_d16_u8 v[vgprG2LB+2+1], v[vgprGlobalReadOffsetB+1], s[sgprSrdB:sgprSrdB+3], 0, offen offset:4 // load one buffer value
/* g2l=2, load component 5 */
_buffer_load_d16_u8 v63, v[vgprGlobalReadOffsetB+1], s[sgprSrdB:sgprSrdB+3], 0, offen offset:5 // load one buffer value
/* g2l=2, load component 6 */
_buffer_load_d16_hi_u8 v64, v[vgprGlobalReadOffsetB+1], s[sgprSrdB:sgprSrdB+3], 0, offen offset:6 // load one buffer value
/* g2l=2, load component 7 */
_buffer_load_d16_hi_u8 v65, v[vgprGlobalReadOffsetB+1], s[sgprSrdB:sgprSrdB+3], 0, offen offset:7 // load one buffer value
s_waitcnt vmcnt(6)
v_lshlrev_b32 v59, 0x8, v59                        // shift left to higher 8 bits
v_or_b32 v[vgprG2LB+2+0], v[vgprG2LB+2+0], v59     // pack a sub 8-bit with dest
s_waitcnt vmcnt(5)
v_or_b32 v[vgprG2LB+2+0], v[vgprG2LB+2+0], v60     // pack a sub 8-bit with dest
s_waitcnt vmcnt(4)
v_lshlrev_b32 v61, 0x8, v61                        // shift left to higher 8 bits
v_or_b32 v[vgprG2LB+2+0], v[vgprG2LB+2+0], v61     // pack a sub 8-bit with dest
s_waitcnt vmcnt(2)
v_lshlrev_b32 v63, 0x8, v63                        // shift left to higher 8 bits
v_or_b32 v[vgprG2LB+2+1], v[vgprG2LB+2+1], v63     // pack a sub 8-bit with dest
s_waitcnt vmcnt(1)
v_or_b32 v[vgprG2LB+2+1], v[vgprG2LB+2+1], v64     // pack a sub 8-bit with dest
s_waitcnt vmcnt(0)
v_lshlrev_b32 v65, 0x8, v65                        // shift left to higher 8 bits
v_or_b32 v[vgprG2LB+2+1], v[vgprG2LB+2+1], v65     // pack a sub 8-bit with dest
	;; [unrolled: 32-line block ×3, first 2 shown]

s_waitcnt vmcnt(0)                                 // lgkmcnt=-1 vmcnt=02wait for global read

// Skip force waitcnt0
s_barrier //


/* Done global A/B reads */


	;; [unrolled: 1-line block ×4, first 2 shown]
/* local write a */

_ds_store_b64 v[vgprLocalWriteAddrA], v[vgprG2LA+0:vgprG2LA+0+1] offset:0 // lwoA_0_0_0_0 = (0*LSCA)*(MT0I+PAD) + (0*LSPA) = 0
_ds_store_b64 v[vgprLocalWriteAddrA], v[vgprG2LA+2:vgprG2LA+2+1] offset:576 // lwoA_0_0_1_0 = (0*LSCA)*(MT0I+PAD) + (1*LSPA) = 576
_ds_store_b64 v[vgprLocalWriteAddrA], v[vgprG2LA+4:vgprG2LA+4+1] offset:1152 // lwoA_0_0_2_0 = (0*LSCA)*(MT0I+PAD) + (2*LSPA) = 1152
_ds_store_b64 v[vgprLocalWriteAddrA], v[vgprG2LA+6:vgprG2LA+6+1] offset:1728 // lwoA_0_0_3_0 = (0*LSCA)*(MT0I+PAD) + (3*LSPA) = 1728


/* local write b */

_ds_store_b64 v[vgprLocalWriteAddrB], v[vgprG2LB+0:vgprG2LB+0+1] offset:0 // lwoB_0_0_0_0 = (0*LSCB) + (0*LSPB)(*MT1J+PAD) = 0
_ds_store_b64 v[vgprLocalWriteAddrB], v[vgprG2LB+2:vgprG2LB+2+1] offset:32 // lwoB_1_0_0_0 = (1*LSCB) + (0*LSPB)(*MT1J+PAD) = 32
_ds_store_b64 v[vgprLocalWriteAddrB], v[vgprG2LB+4:vgprG2LB+4+1] offset:64 // lwoB_2_0_0_0 = (2*LSCB) + (0*LSPB)(*MT1J+PAD) = 64


/* Recalc local read offsets */

/*lr0I*/
v_and_b32 v60, 63, v[vgprSerial]                   // 0. thread id in wave: wtid = tid % wavelength(64)
v_and_b32 v59, 31, v60                             // 1. N offset: nIdx = wtid % MI_N(32)
v_lshlrev_b32 v59, 0x6, v59                        // 1. N offset: nOffset = nIdx * nStride(64)
                                                   // 2. block offset: bnIdx = bnIdx % num1DBlocks(1) is 0. do nothing
                                                   // 4. apply VectorWidth: bnOffset = bnOffset * vw(1) (multiplier is 1, do nothing)
v_lshrrev_b32 v60, 5, v60                          // 5. K offset: kIdx = wtid / (MIN(32) * MIBB(1))
v_lshlrev_b32 v60, 0x2, v60                        // 5. K offset: lrKOffset = kIdx * mStride(4)
_v_add_u32 v59, v60, v59                           // 6. offset in wave: lrOffset = bnOffset + lrKOffset
v_lshrrev_b32 v61, 6, v[vgprSerial]                // 7. wave offset in N dimen: wtid = tid / dividedForWaveId(64)
v_and_b32 v60, 3, v61                              // 7. wave offset in M dimen: wtid0 = wtid / num1DWaves(4)
v_lshlrev_b32 v60, 0xb, v60                        // 7. wave offset in M dimen: wOffset = wtid0 * W0Stride(2048)
_v_add_u32 v59, v60, v59                           // 8. final local read offset: flrOffset = lrOffset + WOffset
/*lr1J*/
v_and_b32 v61, 63, v[vgprSerial]                   // 0. thread id in wave: wtid = tid % wavelength(64)
v_and_b32 v60, 31, v61                             // 1. N offset: nIdx = wtid % MI_N(32)
                                                   // 1. N offset: nOffset = nIdx * nStride(1) (multiplier is 1, do nothing)
                                                   // 2. block offset: bnIdx = bnIdx % num1DBlocks(1) is 0. do nothing
                                                   // 4. apply VectorWidth: bnOffset = bnOffset * vw(1) (multiplier is 1, do nothing)
v_lshrrev_b32 v61, 5, v61                          // 5. K offset: kIdx = wtid / (MIN(32) * MIBB(1))
s_mov_b32 s31, 0x180                               // 5. K offset: lrKOffset = kIdx * mStride(384)
v_mul_lo_u32 v61, s31, v61                         // 5. K offset: lrKOffset = kIdx * mStride(384)
_v_add_u32 v60, v61, v60                           // 6. offset in wave: lrOffset = bnOffset + lrKOffset
v_lshlrev_b32 v[vgprLocalReadAddrA], 0x0, v59      // Final Offset: offset = (lro0)*bpe
v_lshrrev_b32 v59, 7, v[vgprLocalReadAddrA]        // Final Offset: padding 16 per block 128
v_lshlrev_b32 v59, 0x4, v59                        // Final Offset: padding 16 per block 128
_v_add_u32 v[vgprLocalReadAddrA], v59, v[vgprLocalReadAddrA] // Final Offset: add padding 16 per block 128
/* N/A */
v_lshlrev_b32 v[vgprLocalReadAddrB], 0x0, v60      // Final Offset: offset = (lro1)*bpe
_v_add_co_u32 v[vgprLocalReadAddrB+0], vcc, 0x2400, v[vgprLocalReadAddrB+0] //  += LdsOffsetB (lower)

s_waitcnt lgkmcnt(0)                               // lgkmcnt=0 vmcnt=-15wait for local write

// Skip force waitcnt0
s_barrier //


/* local read reset offsets a */


/* localReadResetOffsets */
/* handled internally */
v_and_b32 v[vgprLocalReadAddrA], 0x3fff, v[vgprLocalReadAddrA] // reset Red,Blk -> Red


/* local read reset offsets b */


/* localReadResetOffsets */
/* handled internally */
v_and_b32 v[vgprLocalReadAddrB], 0x3fff, v[vgprLocalReadAddrB] // reset Red,Blk -> Red


/* local read init pointers a */


/* localReadInitPointers */


/* local read init pointers b */


/* localReadInitPointers */


/* tail loop: macs */

TailLoopBeginL_6:


/* tail loop unroll iter 0 */


/* local read a */

_ds_load_b32 v[vgprValuA_X0_I0+0], v[vgprLocalReadAddrA] offset:0 // L -> Reg lro=0 swapByteOffset=0 ti=128 vIdx=0 rIdx=0 oIdx=0 buffer=0 iui=0


/* local read b */

_ds_load_u8 v[vgprValuB_X0_I0+0], v[vgprLocalReadAddrB] offset:0 // L -> Reg lro=0 swapByteOffset=0 ti=32 vIdx=0 rIdx=0 oIdx=0 buffer=0 iui=0
_ds_load_u8 v59, v[vgprLocalReadAddrB] offset:96   // L -> Reg lro=0 swapByteOffset=0 ti=32 vIdx=0 rIdx=1 oIdx=0 buffer=0 iui=0
_ds_load_u8_d16_hi v60, v[vgprLocalReadAddrB] offset:192 // L -> Reg lro=0 swapByteOffset=0 ti=32 vIdx=0 rIdx=2 oIdx=0 buffer=0 iui=0
_ds_load_u8_d16_hi v61, v[vgprLocalReadAddrB] offset:288 // L -> Reg lro=0 swapByteOffset=0 ti=32 vIdx=0 rIdx=3 oIdx=0 buffer=0 iui=0
_ds_load_u8 v[vgprValuB_X0_I0+1], v[vgprLocalReadAddrB] offset:32 // L -> Reg lro=0 swapByteOffset=0 ti=32 vIdx=1 rIdx=0 oIdx=0 buffer=0 iui=0
_ds_load_u8 v62, v[vgprLocalReadAddrB] offset:128  // L -> Reg lro=0 swapByteOffset=0 ti=32 vIdx=1 rIdx=1 oIdx=0 buffer=0 iui=0
_ds_load_u8_d16_hi v63, v[vgprLocalReadAddrB] offset:224 // L -> Reg lro=0 swapByteOffset=0 ti=32 vIdx=1 rIdx=2 oIdx=0 buffer=0 iui=0
_ds_load_u8_d16_hi v64, v[vgprLocalReadAddrB] offset:320 // L -> Reg lro=0 swapByteOffset=0 ti=32 vIdx=1 rIdx=3 oIdx=0 buffer=0 iui=0
_ds_load_u8 v[vgprValuB_X0_I0+2], v[vgprLocalReadAddrB] offset:64 // L -> Reg lro=0 swapByteOffset=0 ti=32 vIdx=2 rIdx=0 oIdx=0 buffer=0 iui=0
_ds_load_u8 v65, v[vgprLocalReadAddrB] offset:160  // L -> Reg lro=0 swapByteOffset=0 ti=32 vIdx=2 rIdx=1 oIdx=0 buffer=0 iui=0
_ds_load_u8_d16_hi v66, v[vgprLocalReadAddrB] offset:256 // L -> Reg lro=0 swapByteOffset=0 ti=32 vIdx=2 rIdx=2 oIdx=0 buffer=0 iui=0
_ds_load_u8_d16_hi v67, v[vgprLocalReadAddrB] offset:352 // L -> Reg lro=0 swapByteOffset=0 ti=32 vIdx=2 rIdx=3 oIdx=0 buffer=0 iui=0


/* local read inc a */

s_mov_b32 s31, 0x8                                 // inc
_v_add_co_u32 v[vgprLocalReadAddrA], vcc, s31, v[vgprLocalReadAddrA] // lrA += 8 (LSU*bpe)


/* local read inc b */

s_mov_b32 s31, 0x300                               // inc
_v_add_co_u32 v[vgprLocalReadAddrB], vcc, s31, v[vgprLocalReadAddrB] // lrB += 768 (LSU*(MT+PAD)*bpe)

s_waitcnt lgkmcnt(0)                               // lgkmcnt=0 vmcnt=-14wait for local read

_v_lshl_or_b32 v[vgprValuB_X0_I0+0], v59, 0x8, v[vgprValuB_X0_I0+0] // pack two int8 Vgpr to one half Vgpr
_v_lshl_or_b32 v60, v61, 0x8, v60                  // pack two int8 Vgpr to one half Vgpr
v_or_b32 v[vgprValuB_X0_I0+0], v[vgprValuB_X0_I0+0], v60 // pack two half Vgpr to one Vgpr
_v_lshl_or_b32 v[vgprValuB_X0_I0+1], v62, 0x8, v[vgprValuB_X0_I0+1] // pack two int8 Vgpr to one half Vgpr
_v_lshl_or_b32 v63, v64, 0x8, v63                  // pack two int8 Vgpr to one half Vgpr
v_or_b32 v[vgprValuB_X0_I0+1], v[vgprValuB_X0_I0+1], v63 // pack two half Vgpr to one Vgpr
	;; [unrolled: 3-line block ×3, first 2 shown]


/* tail loop mfma iter 0: numReadsIterCoalescedA=1, numReadsIterCoalescedB=1 */
v_and_b32 v59, 63, v[vgprSerial]                   // v59 = v[vgprSerial] % 64
v_lshrrev_b32 v59, 5, v59                          // v59 = v59 / 32
v_lshlrev_b32 v59, 0x2, v59                        // v59 = v59 * 4
v_cmp_ge_i32 s[32:33], v59, s[sgprLoopCounterL]    // check K index >= Size L
v_cndmask_b32 v[vgprValuA_X0_I0+0+0+0+0], v[vgprValuA_X0_I0+0+0+0+0], 0x0, s[32:33] // set 0 if K_idx >= sizeL
_v_sub_u32 v59, s[sgprLoopCounterL], v59           // get distance between size and k index
v_cmp_lt_i32 s[32:33], v59, 4                      // set partial 0 if distance less than input per thread
s_and_b32 s34, s[sgprLoopCounterL], 3              // get inputs for edge thread
s_sub_u32 s34, 4, s34                              // use shift to fill 0 for outside element
s_lshl_b32 s34, s34, 3                             // use shift to fill 0 for outside element
v_mov_b32 v60, -1                                  // set 0xffffffff
v_lshrrev_b32 v60, s34, v60                        // rshift mask for partial k
v_cndmask_b32 v60, -1, v60, s[32:33]               // select shifted mask for partial k
v_and_b32 v[vgprValuA_X0_I0+0+0+0+0], v[vgprValuA_X0_I0+0+0+0+0], v60 // 
s_nop 1
v_mfma_i32_32x32x8i8 a[0+0:15+0], v[vgprValuA_X0_I0+0+0+0], v[vgprValuB_X0_I0+0+0+0], a[0:15]
v_mfma_i32_32x32x8i8 a[16+0:31+0], v[vgprValuA_X0_I0+0+0+0], v[vgprValuB_X0_I0+1+0+0], a[16:31]
	;; [unrolled: 1-line block ×3, first 2 shown]


/* closeLoop loopL finalLoop=0 tailLoop=1 */
s_sub_i32 s[sgprLoopCounterL], s[sgprLoopCounterL], 0x8 // dec counterL (tailLoop)
s_add_u32 s[sgprOrigLoopCounter], s[sgprOrigLoopCounter], 0x8 // inc counterL
s_cmp_le_i32 s[sgprLoopCounterL], 0x0              // counterL<=0
s_cbranch_scc1 TailLoopEndL_7                      // exit LoopL


/* tail loop unroll iter 1 */


/* local read a */

_ds_load_b32 v[vgprValuA_X1_I0+0], v[vgprLocalReadAddrA] offset:0 // L -> Reg lro=0 swapByteOffset=0 ti=128 vIdx=0 rIdx=0 oIdx=0 buffer=1 iui=0


/* local read b */

_ds_load_u8 v[vgprValuB_X1_I0+0], v[vgprLocalReadAddrB] offset:0 // L -> Reg lro=0 swapByteOffset=0 ti=32 vIdx=0 rIdx=0 oIdx=0 buffer=1 iui=0
_ds_load_u8 v59, v[vgprLocalReadAddrB] offset:96   // L -> Reg lro=0 swapByteOffset=0 ti=32 vIdx=0 rIdx=1 oIdx=0 buffer=1 iui=0
_ds_load_u8_d16_hi v60, v[vgprLocalReadAddrB] offset:192 // L -> Reg lro=0 swapByteOffset=0 ti=32 vIdx=0 rIdx=2 oIdx=0 buffer=1 iui=0
_ds_load_u8_d16_hi v61, v[vgprLocalReadAddrB] offset:288 // L -> Reg lro=0 swapByteOffset=0 ti=32 vIdx=0 rIdx=3 oIdx=0 buffer=1 iui=0
_ds_load_u8 v[vgprValuB_X1_I0+1], v[vgprLocalReadAddrB] offset:32 // L -> Reg lro=0 swapByteOffset=0 ti=32 vIdx=1 rIdx=0 oIdx=0 buffer=1 iui=0
_ds_load_u8 v62, v[vgprLocalReadAddrB] offset:128  // L -> Reg lro=0 swapByteOffset=0 ti=32 vIdx=1 rIdx=1 oIdx=0 buffer=1 iui=0
_ds_load_u8_d16_hi v63, v[vgprLocalReadAddrB] offset:224 // L -> Reg lro=0 swapByteOffset=0 ti=32 vIdx=1 rIdx=2 oIdx=0 buffer=1 iui=0
_ds_load_u8_d16_hi v64, v[vgprLocalReadAddrB] offset:320 // L -> Reg lro=0 swapByteOffset=0 ti=32 vIdx=1 rIdx=3 oIdx=0 buffer=1 iui=0
_ds_load_u8 v[vgprValuB_X1_I0+2], v[vgprLocalReadAddrB] offset:64 // L -> Reg lro=0 swapByteOffset=0 ti=32 vIdx=2 rIdx=0 oIdx=0 buffer=1 iui=0
_ds_load_u8 v65, v[vgprLocalReadAddrB] offset:160  // L -> Reg lro=0 swapByteOffset=0 ti=32 vIdx=2 rIdx=1 oIdx=0 buffer=1 iui=0
_ds_load_u8_d16_hi v66, v[vgprLocalReadAddrB] offset:256 // L -> Reg lro=0 swapByteOffset=0 ti=32 vIdx=2 rIdx=2 oIdx=0 buffer=1 iui=0
_ds_load_u8_d16_hi v67, v[vgprLocalReadAddrB] offset:352 // L -> Reg lro=0 swapByteOffset=0 ti=32 vIdx=2 rIdx=3 oIdx=0 buffer=1 iui=0


/* local read inc a */

s_mov_b32 s31, 0x8                                 // inc
_v_add_co_u32 v[vgprLocalReadAddrA], vcc, s31, v[vgprLocalReadAddrA] // lrA += 8 (LSU*bpe)


/* local read inc b */

s_mov_b32 s31, 0x300                               // inc
_v_add_co_u32 v[vgprLocalReadAddrB], vcc, s31, v[vgprLocalReadAddrB] // lrB += 768 (LSU*(MT+PAD)*bpe)

s_waitcnt lgkmcnt(0)                               // lgkmcnt=0 vmcnt=-14wait for local read

_v_lshl_or_b32 v[vgprValuB_X1_I0+0], v59, 0x8, v[vgprValuB_X1_I0+0] // pack two int8 Vgpr to one half Vgpr
_v_lshl_or_b32 v60, v61, 0x8, v60                  // pack two int8 Vgpr to one half Vgpr
v_or_b32 v[vgprValuB_X1_I0+0], v[vgprValuB_X1_I0+0], v60 // pack two half Vgpr to one Vgpr
_v_lshl_or_b32 v[vgprValuB_X1_I0+1], v62, 0x8, v[vgprValuB_X1_I0+1] // pack two int8 Vgpr to one half Vgpr
_v_lshl_or_b32 v63, v64, 0x8, v63                  // pack two int8 Vgpr to one half Vgpr
v_or_b32 v[vgprValuB_X1_I0+1], v[vgprValuB_X1_I0+1], v63 // pack two half Vgpr to one Vgpr
	;; [unrolled: 3-line block ×3, first 2 shown]


/* tail loop mfma iter 1: numReadsIterCoalescedA=1, numReadsIterCoalescedB=1 */
v_and_b32 v59, 63, v[vgprSerial]                   // v59 = v[vgprSerial] % 64
v_lshrrev_b32 v59, 5, v59                          // v59 = v59 / 32
v_lshlrev_b32 v59, 0x2, v59                        // v59 = v59 * 4
v_cmp_ge_i32 s[32:33], v59, s[sgprLoopCounterL]    // check K index >= Size L
v_cndmask_b32 v[vgprValuA_X1_I0+0+0+0+0], v[vgprValuA_X1_I0+0+0+0+0], 0x0, s[32:33] // set 0 if K_idx >= sizeL
_v_sub_u32 v59, s[sgprLoopCounterL], v59           // get distance between size and k index
v_cmp_lt_i32 s[32:33], v59, 4                      // set partial 0 if distance less than input per thread
s_and_b32 s34, s[sgprLoopCounterL], 3              // get inputs for edge thread
s_sub_u32 s34, 4, s34                              // use shift to fill 0 for outside element
s_lshl_b32 s34, s34, 3                             // use shift to fill 0 for outside element
v_mov_b32 v60, -1                                  // set 0xffffffff
v_lshrrev_b32 v60, s34, v60                        // rshift mask for partial k
v_cndmask_b32 v60, -1, v60, s[32:33]               // select shifted mask for partial k
v_and_b32 v[vgprValuA_X1_I0+0+0+0+0], v[vgprValuA_X1_I0+0+0+0+0], v60 // 
s_nop 1
v_mfma_i32_32x32x8i8 a[0+0:15+0], v[vgprValuA_X1_I0+0+0+0], v[vgprValuB_X1_I0+0+0+0], a[0:15]
v_mfma_i32_32x32x8i8 a[16+0:31+0], v[vgprValuA_X1_I0+0+0+0], v[vgprValuB_X1_I0+1+0+0], a[16:31]
	;; [unrolled: 1-line block ×3, first 2 shown]


/* closeLoop loopL finalLoop=0 tailLoop=1 */
s_sub_i32 s[sgprLoopCounterL], s[sgprLoopCounterL], 0x8 // dec counterL (tailLoop)
s_add_u32 s[sgprOrigLoopCounter], s[sgprOrigLoopCounter], 0x8 // inc counterL
s_cmp_le_i32 s[sgprLoopCounterL], 0x0              // counterL<=0
s_cbranch_scc1 TailLoopEndL_7                      // exit LoopL


/* tail loop unroll iter 2 */


/* local read a */

_ds_load_b32 v[vgprValuA_X2_I0+0], v[vgprLocalReadAddrA] offset:0 // L -> Reg lro=0 swapByteOffset=0 ti=128 vIdx=0 rIdx=0 oIdx=0 buffer=2 iui=0


/* local read b */

_ds_load_u8 v[vgprValuB_X2_I0+0], v[vgprLocalReadAddrB] offset:0 // L -> Reg lro=0 swapByteOffset=0 ti=32 vIdx=0 rIdx=0 oIdx=0 buffer=2 iui=0
_ds_load_u8 v59, v[vgprLocalReadAddrB] offset:96   // L -> Reg lro=0 swapByteOffset=0 ti=32 vIdx=0 rIdx=1 oIdx=0 buffer=2 iui=0
_ds_load_u8_d16_hi v60, v[vgprLocalReadAddrB] offset:192 // L -> Reg lro=0 swapByteOffset=0 ti=32 vIdx=0 rIdx=2 oIdx=0 buffer=2 iui=0
_ds_load_u8_d16_hi v61, v[vgprLocalReadAddrB] offset:288 // L -> Reg lro=0 swapByteOffset=0 ti=32 vIdx=0 rIdx=3 oIdx=0 buffer=2 iui=0
_ds_load_u8 v[vgprValuB_X2_I0+1], v[vgprLocalReadAddrB] offset:32 // L -> Reg lro=0 swapByteOffset=0 ti=32 vIdx=1 rIdx=0 oIdx=0 buffer=2 iui=0
_ds_load_u8 v62, v[vgprLocalReadAddrB] offset:128  // L -> Reg lro=0 swapByteOffset=0 ti=32 vIdx=1 rIdx=1 oIdx=0 buffer=2 iui=0
_ds_load_u8_d16_hi v63, v[vgprLocalReadAddrB] offset:224 // L -> Reg lro=0 swapByteOffset=0 ti=32 vIdx=1 rIdx=2 oIdx=0 buffer=2 iui=0
_ds_load_u8_d16_hi v64, v[vgprLocalReadAddrB] offset:320 // L -> Reg lro=0 swapByteOffset=0 ti=32 vIdx=1 rIdx=3 oIdx=0 buffer=2 iui=0
_ds_load_u8 v[vgprValuB_X2_I0+2], v[vgprLocalReadAddrB] offset:64 // L -> Reg lro=0 swapByteOffset=0 ti=32 vIdx=2 rIdx=0 oIdx=0 buffer=2 iui=0
_ds_load_u8 v65, v[vgprLocalReadAddrB] offset:160  // L -> Reg lro=0 swapByteOffset=0 ti=32 vIdx=2 rIdx=1 oIdx=0 buffer=2 iui=0
_ds_load_u8_d16_hi v66, v[vgprLocalReadAddrB] offset:256 // L -> Reg lro=0 swapByteOffset=0 ti=32 vIdx=2 rIdx=2 oIdx=0 buffer=2 iui=0
_ds_load_u8_d16_hi v67, v[vgprLocalReadAddrB] offset:352 // L -> Reg lro=0 swapByteOffset=0 ti=32 vIdx=2 rIdx=3 oIdx=0 buffer=2 iui=0


/* local read inc a */

s_mov_b32 s31, 0x8                                 // inc
_v_add_co_u32 v[vgprLocalReadAddrA], vcc, s31, v[vgprLocalReadAddrA] // lrA += 8 (LSU*bpe)


/* local read inc b */

s_mov_b32 s31, 0x300                               // inc
_v_add_co_u32 v[vgprLocalReadAddrB], vcc, s31, v[vgprLocalReadAddrB] // lrB += 768 (LSU*(MT+PAD)*bpe)

s_waitcnt lgkmcnt(0)                               // lgkmcnt=0 vmcnt=-14wait for local read

_v_lshl_or_b32 v[vgprValuB_X2_I0+0], v59, 0x8, v[vgprValuB_X2_I0+0] // pack two int8 Vgpr to one half Vgpr
_v_lshl_or_b32 v60, v61, 0x8, v60                  // pack two int8 Vgpr to one half Vgpr
v_or_b32 v[vgprValuB_X2_I0+0], v[vgprValuB_X2_I0+0], v60 // pack two half Vgpr to one Vgpr
_v_lshl_or_b32 v[vgprValuB_X2_I0+1], v62, 0x8, v[vgprValuB_X2_I0+1] // pack two int8 Vgpr to one half Vgpr
_v_lshl_or_b32 v63, v64, 0x8, v63                  // pack two int8 Vgpr to one half Vgpr
v_or_b32 v[vgprValuB_X2_I0+1], v[vgprValuB_X2_I0+1], v63 // pack two half Vgpr to one Vgpr
	;; [unrolled: 3-line block ×3, first 2 shown]


/* tail loop mfma iter 2: numReadsIterCoalescedA=1, numReadsIterCoalescedB=1 */
v_and_b32 v59, 63, v[vgprSerial]                   // v59 = v[vgprSerial] % 64
v_lshrrev_b32 v59, 5, v59                          // v59 = v59 / 32
v_lshlrev_b32 v59, 0x2, v59                        // v59 = v59 * 4
v_cmp_ge_i32 s[32:33], v59, s[sgprLoopCounterL]    // check K index >= Size L
v_cndmask_b32 v[vgprValuA_X2_I0+0+0+0+0], v[vgprValuA_X2_I0+0+0+0+0], 0x0, s[32:33] // set 0 if K_idx >= sizeL
_v_sub_u32 v59, s[sgprLoopCounterL], v59           // get distance between size and k index
v_cmp_lt_i32 s[32:33], v59, 4                      // set partial 0 if distance less than input per thread
s_and_b32 s34, s[sgprLoopCounterL], 3              // get inputs for edge thread
s_sub_u32 s34, 4, s34                              // use shift to fill 0 for outside element
s_lshl_b32 s34, s34, 3                             // use shift to fill 0 for outside element
v_mov_b32 v60, -1                                  // set 0xffffffff
v_lshrrev_b32 v60, s34, v60                        // rshift mask for partial k
v_cndmask_b32 v60, -1, v60, s[32:33]               // select shifted mask for partial k
v_and_b32 v[vgprValuA_X2_I0+0+0+0+0], v[vgprValuA_X2_I0+0+0+0+0], v60 // 
s_nop 1
v_mfma_i32_32x32x8i8 a[0+0:15+0], v[vgprValuA_X2_I0+0+0+0], v[vgprValuB_X2_I0+0+0+0], a[0:15]
v_mfma_i32_32x32x8i8 a[16+0:31+0], v[vgprValuA_X2_I0+0+0+0], v[vgprValuB_X2_I0+1+0+0], a[16:31]
	;; [unrolled: 1-line block ×3, first 2 shown]


/* closeLoop loopL finalLoop=0 tailLoop=1 */
s_sub_i32 s[sgprLoopCounterL], s[sgprLoopCounterL], 0x8 // dec counterL (tailLoop)
s_add_u32 s[sgprOrigLoopCounter], s[sgprOrigLoopCounter], 0x8 // inc counterL
s_cmp_le_i32 s[sgprLoopCounterL], 0x0              // counterL<=0
s_cbranch_scc1 TailLoopEndL_7                      // exit LoopL


/* tail loop unroll iter 3 */


/* local read a */

_ds_load_b32 v[vgprValuA_X3_I0+0], v[vgprLocalReadAddrA] offset:0 // L -> Reg lro=0 swapByteOffset=0 ti=128 vIdx=0 rIdx=0 oIdx=0 buffer=3 iui=0


/* local read b */

_ds_load_u8 v[vgprValuB_X3_I0+0], v[vgprLocalReadAddrB] offset:0 // L -> Reg lro=0 swapByteOffset=0 ti=32 vIdx=0 rIdx=0 oIdx=0 buffer=3 iui=0
_ds_load_u8 v59, v[vgprLocalReadAddrB] offset:96   // L -> Reg lro=0 swapByteOffset=0 ti=32 vIdx=0 rIdx=1 oIdx=0 buffer=3 iui=0
_ds_load_u8_d16_hi v60, v[vgprLocalReadAddrB] offset:192 // L -> Reg lro=0 swapByteOffset=0 ti=32 vIdx=0 rIdx=2 oIdx=0 buffer=3 iui=0
_ds_load_u8_d16_hi v61, v[vgprLocalReadAddrB] offset:288 // L -> Reg lro=0 swapByteOffset=0 ti=32 vIdx=0 rIdx=3 oIdx=0 buffer=3 iui=0
_ds_load_u8 v[vgprValuB_X3_I0+1], v[vgprLocalReadAddrB] offset:32 // L -> Reg lro=0 swapByteOffset=0 ti=32 vIdx=1 rIdx=0 oIdx=0 buffer=3 iui=0
_ds_load_u8 v62, v[vgprLocalReadAddrB] offset:128  // L -> Reg lro=0 swapByteOffset=0 ti=32 vIdx=1 rIdx=1 oIdx=0 buffer=3 iui=0
_ds_load_u8_d16_hi v63, v[vgprLocalReadAddrB] offset:224 // L -> Reg lro=0 swapByteOffset=0 ti=32 vIdx=1 rIdx=2 oIdx=0 buffer=3 iui=0
_ds_load_u8_d16_hi v64, v[vgprLocalReadAddrB] offset:320 // L -> Reg lro=0 swapByteOffset=0 ti=32 vIdx=1 rIdx=3 oIdx=0 buffer=3 iui=0
_ds_load_u8 v[vgprValuB_X3_I0+2], v[vgprLocalReadAddrB] offset:64 // L -> Reg lro=0 swapByteOffset=0 ti=32 vIdx=2 rIdx=0 oIdx=0 buffer=3 iui=0
_ds_load_u8 v65, v[vgprLocalReadAddrB] offset:160  // L -> Reg lro=0 swapByteOffset=0 ti=32 vIdx=2 rIdx=1 oIdx=0 buffer=3 iui=0
_ds_load_u8_d16_hi v66, v[vgprLocalReadAddrB] offset:256 // L -> Reg lro=0 swapByteOffset=0 ti=32 vIdx=2 rIdx=2 oIdx=0 buffer=3 iui=0
_ds_load_u8_d16_hi v67, v[vgprLocalReadAddrB] offset:352 // L -> Reg lro=0 swapByteOffset=0 ti=32 vIdx=2 rIdx=3 oIdx=0 buffer=3 iui=0


/* local read inc a */

s_mov_b32 s31, 0x8                                 // inc
_v_add_co_u32 v[vgprLocalReadAddrA], vcc, s31, v[vgprLocalReadAddrA] // lrA += 8 (LSU*bpe)


/* local read inc b */

s_mov_b32 s31, 0x300                               // inc
_v_add_co_u32 v[vgprLocalReadAddrB], vcc, s31, v[vgprLocalReadAddrB] // lrB += 768 (LSU*(MT+PAD)*bpe)

s_waitcnt lgkmcnt(0)                               // lgkmcnt=0 vmcnt=-14wait for local read

_v_lshl_or_b32 v[vgprValuB_X3_I0+0], v59, 0x8, v[vgprValuB_X3_I0+0] // pack two int8 Vgpr to one half Vgpr
_v_lshl_or_b32 v60, v61, 0x8, v60                  // pack two int8 Vgpr to one half Vgpr
v_or_b32 v[vgprValuB_X3_I0+0], v[vgprValuB_X3_I0+0], v60 // pack two half Vgpr to one Vgpr
_v_lshl_or_b32 v[vgprValuB_X3_I0+1], v62, 0x8, v[vgprValuB_X3_I0+1] // pack two int8 Vgpr to one half Vgpr
_v_lshl_or_b32 v63, v64, 0x8, v63                  // pack two int8 Vgpr to one half Vgpr
v_or_b32 v[vgprValuB_X3_I0+1], v[vgprValuB_X3_I0+1], v63 // pack two half Vgpr to one Vgpr
	;; [unrolled: 3-line block ×3, first 2 shown]


/* tail loop mfma iter 3: numReadsIterCoalescedA=1, numReadsIterCoalescedB=1 */
v_and_b32 v59, 63, v[vgprSerial]                   // v59 = v[vgprSerial] % 64
v_lshrrev_b32 v59, 5, v59                          // v59 = v59 / 32
v_lshlrev_b32 v59, 0x2, v59                        // v59 = v59 * 4
v_cmp_ge_i32 s[32:33], v59, s[sgprLoopCounterL]    // check K index >= Size L
v_cndmask_b32 v[vgprValuA_X3_I0+0+0+0+0], v[vgprValuA_X3_I0+0+0+0+0], 0x0, s[32:33] // set 0 if K_idx >= sizeL
_v_sub_u32 v59, s[sgprLoopCounterL], v59           // get distance between size and k index
v_cmp_lt_i32 s[32:33], v59, 4                      // set partial 0 if distance less than input per thread
s_and_b32 s34, s[sgprLoopCounterL], 3              // get inputs for edge thread
s_sub_u32 s34, 4, s34                              // use shift to fill 0 for outside element
s_lshl_b32 s34, s34, 3                             // use shift to fill 0 for outside element
v_mov_b32 v60, -1                                  // set 0xffffffff
v_lshrrev_b32 v60, s34, v60                        // rshift mask for partial k
v_cndmask_b32 v60, -1, v60, s[32:33]               // select shifted mask for partial k
v_and_b32 v[vgprValuA_X3_I0+0+0+0+0], v[vgprValuA_X3_I0+0+0+0+0], v60 // 
s_nop 1
v_mfma_i32_32x32x8i8 a[0+0:15+0], v[vgprValuA_X3_I0+0+0+0], v[vgprValuB_X3_I0+0+0+0], a[0:15]
v_mfma_i32_32x32x8i8 a[16+0:31+0], v[vgprValuA_X3_I0+0+0+0], v[vgprValuB_X3_I0+1+0+0], a[16:31]
	;; [unrolled: 1-line block ×3, first 2 shown]


/* closeLoop loopL finalLoop=0 tailLoop=1 */
s_sub_i32 s[sgprLoopCounterL], s[sgprLoopCounterL], 0x8 // dec counterL (tailLoop)
s_add_u32 s[sgprOrigLoopCounter], s[sgprOrigLoopCounter], 0x8 // inc counterL
s_cmp_le_i32 s[sgprLoopCounterL], 0x0              // counterL<=0
s_cbranch_scc1 TailLoopEndL_7                      // exit LoopL


/* tail loop unroll iter 4 */


/* local read a */

_ds_load_b32 v[vgprValuA_X4_I0+0], v[vgprLocalReadAddrA] offset:0 // L -> Reg lro=0 swapByteOffset=0 ti=128 vIdx=0 rIdx=0 oIdx=0 buffer=4 iui=0


/* local read b */

_ds_load_u8 v[vgprValuB_X4_I0+0], v[vgprLocalReadAddrB] offset:0 // L -> Reg lro=0 swapByteOffset=0 ti=32 vIdx=0 rIdx=0 oIdx=0 buffer=4 iui=0
_ds_load_u8 v59, v[vgprLocalReadAddrB] offset:96   // L -> Reg lro=0 swapByteOffset=0 ti=32 vIdx=0 rIdx=1 oIdx=0 buffer=4 iui=0
_ds_load_u8_d16_hi v60, v[vgprLocalReadAddrB] offset:192 // L -> Reg lro=0 swapByteOffset=0 ti=32 vIdx=0 rIdx=2 oIdx=0 buffer=4 iui=0
_ds_load_u8_d16_hi v61, v[vgprLocalReadAddrB] offset:288 // L -> Reg lro=0 swapByteOffset=0 ti=32 vIdx=0 rIdx=3 oIdx=0 buffer=4 iui=0
_ds_load_u8 v[vgprValuB_X4_I0+1], v[vgprLocalReadAddrB] offset:32 // L -> Reg lro=0 swapByteOffset=0 ti=32 vIdx=1 rIdx=0 oIdx=0 buffer=4 iui=0
_ds_load_u8 v62, v[vgprLocalReadAddrB] offset:128  // L -> Reg lro=0 swapByteOffset=0 ti=32 vIdx=1 rIdx=1 oIdx=0 buffer=4 iui=0
_ds_load_u8_d16_hi v63, v[vgprLocalReadAddrB] offset:224 // L -> Reg lro=0 swapByteOffset=0 ti=32 vIdx=1 rIdx=2 oIdx=0 buffer=4 iui=0
_ds_load_u8_d16_hi v64, v[vgprLocalReadAddrB] offset:320 // L -> Reg lro=0 swapByteOffset=0 ti=32 vIdx=1 rIdx=3 oIdx=0 buffer=4 iui=0
_ds_load_u8 v[vgprValuB_X4_I0+2], v[vgprLocalReadAddrB] offset:64 // L -> Reg lro=0 swapByteOffset=0 ti=32 vIdx=2 rIdx=0 oIdx=0 buffer=4 iui=0
_ds_load_u8 v65, v[vgprLocalReadAddrB] offset:160  // L -> Reg lro=0 swapByteOffset=0 ti=32 vIdx=2 rIdx=1 oIdx=0 buffer=4 iui=0
_ds_load_u8_d16_hi v66, v[vgprLocalReadAddrB] offset:256 // L -> Reg lro=0 swapByteOffset=0 ti=32 vIdx=2 rIdx=2 oIdx=0 buffer=4 iui=0
_ds_load_u8_d16_hi v67, v[vgprLocalReadAddrB] offset:352 // L -> Reg lro=0 swapByteOffset=0 ti=32 vIdx=2 rIdx=3 oIdx=0 buffer=4 iui=0


/* local read inc a */

s_mov_b32 s31, 0x8                                 // inc
_v_add_co_u32 v[vgprLocalReadAddrA], vcc, s31, v[vgprLocalReadAddrA] // lrA += 8 (LSU*bpe)


/* local read inc b */

s_mov_b32 s31, 0x300                               // inc
_v_add_co_u32 v[vgprLocalReadAddrB], vcc, s31, v[vgprLocalReadAddrB] // lrB += 768 (LSU*(MT+PAD)*bpe)

s_waitcnt lgkmcnt(0)                               // lgkmcnt=0 vmcnt=-14wait for local read

_v_lshl_or_b32 v[vgprValuB_X4_I0+0], v59, 0x8, v[vgprValuB_X4_I0+0] // pack two int8 Vgpr to one half Vgpr
_v_lshl_or_b32 v60, v61, 0x8, v60                  // pack two int8 Vgpr to one half Vgpr
v_or_b32 v[vgprValuB_X4_I0+0], v[vgprValuB_X4_I0+0], v60 // pack two half Vgpr to one Vgpr
_v_lshl_or_b32 v[vgprValuB_X4_I0+1], v62, 0x8, v[vgprValuB_X4_I0+1] // pack two int8 Vgpr to one half Vgpr
_v_lshl_or_b32 v63, v64, 0x8, v63                  // pack two int8 Vgpr to one half Vgpr
v_or_b32 v[vgprValuB_X4_I0+1], v[vgprValuB_X4_I0+1], v63 // pack two half Vgpr to one Vgpr
_v_lshl_or_b32 v[vgprValuB_X4_I0+2], v65, 0x8, v[vgprValuB_X4_I0+2] // pack two int8 Vgpr to one half Vgpr
_v_lshl_or_b32 v66, v67, 0x8, v66                  // pack two int8 Vgpr to one half Vgpr
v_or_b32 v[vgprValuB_X4_I0+2], v[vgprValuB_X4_I0+2], v66 // pack two half Vgpr to one Vgpr


/* tail loop mfma iter 4: numReadsIterCoalescedA=1, numReadsIterCoalescedB=1 */
v_and_b32 v59, 63, v[vgprSerial]                   // v59 = v[vgprSerial] % 64
v_lshrrev_b32 v59, 5, v59                          // v59 = v59 / 32
v_lshlrev_b32 v59, 0x2, v59                        // v59 = v59 * 4
v_cmp_ge_i32 s[32:33], v59, s[sgprLoopCounterL]    // check K index >= Size L
v_cndmask_b32 v[vgprValuA_X4_I0+0+0+0+0], v[vgprValuA_X4_I0+0+0+0+0], 0x0, s[32:33] // set 0 if K_idx >= sizeL
_v_sub_u32 v59, s[sgprLoopCounterL], v59           // get distance between size and k index
v_cmp_lt_i32 s[32:33], v59, 4                      // set partial 0 if distance less than input per thread
s_and_b32 s34, s[sgprLoopCounterL], 3              // get inputs for edge thread
s_sub_u32 s34, 4, s34                              // use shift to fill 0 for outside element
s_lshl_b32 s34, s34, 3                             // use shift to fill 0 for outside element
v_mov_b32 v60, -1                                  // set 0xffffffff
v_lshrrev_b32 v60, s34, v60                        // rshift mask for partial k
v_cndmask_b32 v60, -1, v60, s[32:33]               // select shifted mask for partial k
v_and_b32 v[vgprValuA_X4_I0+0+0+0+0], v[vgprValuA_X4_I0+0+0+0+0], v60 // 
s_nop 1
v_mfma_i32_32x32x8i8 a[0+0:15+0], v[vgprValuA_X4_I0+0+0+0], v[vgprValuB_X4_I0+0+0+0], a[0:15]
v_mfma_i32_32x32x8i8 a[16+0:31+0], v[vgprValuA_X4_I0+0+0+0], v[vgprValuB_X4_I0+1+0+0], a[16:31]
	;; [unrolled: 1-line block ×3, first 2 shown]


/* closeLoop loopL finalLoop=0 tailLoop=1 */
s_sub_i32 s[sgprLoopCounterL], s[sgprLoopCounterL], 0x8 // dec counterL (tailLoop)
s_add_u32 s[sgprOrigLoopCounter], s[sgprOrigLoopCounter], 0x8 // inc counterL
s_cmp_le_i32 s[sgprLoopCounterL], 0x0              // counterL<=0
s_cbranch_scc1 TailLoopEndL_7                      // exit LoopL


/* tail loop unroll iter 5 */


/* local read a */

_ds_load_b32 v[vgprValuA_X5_I0+0], v[vgprLocalReadAddrA] offset:0 // L -> Reg lro=0 swapByteOffset=0 ti=128 vIdx=0 rIdx=0 oIdx=0 buffer=5 iui=0


/* local read b */

_ds_load_u8 v[vgprValuB_X5_I0+0], v[vgprLocalReadAddrB] offset:0 // L -> Reg lro=0 swapByteOffset=0 ti=32 vIdx=0 rIdx=0 oIdx=0 buffer=5 iui=0
_ds_load_u8 v59, v[vgprLocalReadAddrB] offset:96   // L -> Reg lro=0 swapByteOffset=0 ti=32 vIdx=0 rIdx=1 oIdx=0 buffer=5 iui=0
_ds_load_u8_d16_hi v60, v[vgprLocalReadAddrB] offset:192 // L -> Reg lro=0 swapByteOffset=0 ti=32 vIdx=0 rIdx=2 oIdx=0 buffer=5 iui=0
_ds_load_u8_d16_hi v61, v[vgprLocalReadAddrB] offset:288 // L -> Reg lro=0 swapByteOffset=0 ti=32 vIdx=0 rIdx=3 oIdx=0 buffer=5 iui=0
_ds_load_u8 v[vgprValuB_X5_I0+1], v[vgprLocalReadAddrB] offset:32 // L -> Reg lro=0 swapByteOffset=0 ti=32 vIdx=1 rIdx=0 oIdx=0 buffer=5 iui=0
_ds_load_u8 v62, v[vgprLocalReadAddrB] offset:128  // L -> Reg lro=0 swapByteOffset=0 ti=32 vIdx=1 rIdx=1 oIdx=0 buffer=5 iui=0
_ds_load_u8_d16_hi v63, v[vgprLocalReadAddrB] offset:224 // L -> Reg lro=0 swapByteOffset=0 ti=32 vIdx=1 rIdx=2 oIdx=0 buffer=5 iui=0
_ds_load_u8_d16_hi v64, v[vgprLocalReadAddrB] offset:320 // L -> Reg lro=0 swapByteOffset=0 ti=32 vIdx=1 rIdx=3 oIdx=0 buffer=5 iui=0
_ds_load_u8 v[vgprValuB_X5_I0+2], v[vgprLocalReadAddrB] offset:64 // L -> Reg lro=0 swapByteOffset=0 ti=32 vIdx=2 rIdx=0 oIdx=0 buffer=5 iui=0
_ds_load_u8 v65, v[vgprLocalReadAddrB] offset:160  // L -> Reg lro=0 swapByteOffset=0 ti=32 vIdx=2 rIdx=1 oIdx=0 buffer=5 iui=0
_ds_load_u8_d16_hi v66, v[vgprLocalReadAddrB] offset:256 // L -> Reg lro=0 swapByteOffset=0 ti=32 vIdx=2 rIdx=2 oIdx=0 buffer=5 iui=0
_ds_load_u8_d16_hi v67, v[vgprLocalReadAddrB] offset:352 // L -> Reg lro=0 swapByteOffset=0 ti=32 vIdx=2 rIdx=3 oIdx=0 buffer=5 iui=0


/* local read inc a */

s_mov_b32 s31, 0x8                                 // inc
_v_add_co_u32 v[vgprLocalReadAddrA], vcc, s31, v[vgprLocalReadAddrA] // lrA += 8 (LSU*bpe)


/* local read inc b */

s_mov_b32 s31, 0x300                               // inc
_v_add_co_u32 v[vgprLocalReadAddrB], vcc, s31, v[vgprLocalReadAddrB] // lrB += 768 (LSU*(MT+PAD)*bpe)

s_waitcnt lgkmcnt(0)                               // lgkmcnt=0 vmcnt=-14wait for local read

_v_lshl_or_b32 v[vgprValuB_X5_I0+0], v59, 0x8, v[vgprValuB_X5_I0+0] // pack two int8 Vgpr to one half Vgpr
_v_lshl_or_b32 v60, v61, 0x8, v60                  // pack two int8 Vgpr to one half Vgpr
v_or_b32 v[vgprValuB_X5_I0+0], v[vgprValuB_X5_I0+0], v60 // pack two half Vgpr to one Vgpr
_v_lshl_or_b32 v[vgprValuB_X5_I0+1], v62, 0x8, v[vgprValuB_X5_I0+1] // pack two int8 Vgpr to one half Vgpr
_v_lshl_or_b32 v63, v64, 0x8, v63                  // pack two int8 Vgpr to one half Vgpr
v_or_b32 v[vgprValuB_X5_I0+1], v[vgprValuB_X5_I0+1], v63 // pack two half Vgpr to one Vgpr
	;; [unrolled: 3-line block ×3, first 2 shown]


/* tail loop mfma iter 5: numReadsIterCoalescedA=1, numReadsIterCoalescedB=1 */
v_and_b32 v59, 63, v[vgprSerial]                   // v59 = v[vgprSerial] % 64
v_lshrrev_b32 v59, 5, v59                          // v59 = v59 / 32
v_lshlrev_b32 v59, 0x2, v59                        // v59 = v59 * 4
v_cmp_ge_i32 s[32:33], v59, s[sgprLoopCounterL]    // check K index >= Size L
v_cndmask_b32 v[vgprValuA_X5_I0+0+0+0+0], v[vgprValuA_X5_I0+0+0+0+0], 0x0, s[32:33] // set 0 if K_idx >= sizeL
_v_sub_u32 v59, s[sgprLoopCounterL], v59           // get distance between size and k index
v_cmp_lt_i32 s[32:33], v59, 4                      // set partial 0 if distance less than input per thread
s_and_b32 s34, s[sgprLoopCounterL], 3              // get inputs for edge thread
s_sub_u32 s34, 4, s34                              // use shift to fill 0 for outside element
s_lshl_b32 s34, s34, 3                             // use shift to fill 0 for outside element
v_mov_b32 v60, -1                                  // set 0xffffffff
v_lshrrev_b32 v60, s34, v60                        // rshift mask for partial k
v_cndmask_b32 v60, -1, v60, s[32:33]               // select shifted mask for partial k
v_and_b32 v[vgprValuA_X5_I0+0+0+0+0], v[vgprValuA_X5_I0+0+0+0+0], v60 // 
s_nop 1
v_mfma_i32_32x32x8i8 a[0+0:15+0], v[vgprValuA_X5_I0+0+0+0], v[vgprValuB_X5_I0+0+0+0], a[0:15]
v_mfma_i32_32x32x8i8 a[16+0:31+0], v[vgprValuA_X5_I0+0+0+0], v[vgprValuB_X5_I0+1+0+0], a[16:31]
	;; [unrolled: 1-line block ×3, first 2 shown]


/* closeLoop loopL finalLoop=0 tailLoop=1 */
s_sub_i32 s[sgprLoopCounterL], s[sgprLoopCounterL], 0x8 // dec counterL (tailLoop)
s_add_u32 s[sgprOrigLoopCounter], s[sgprOrigLoopCounter], 0x8 // inc counterL
s_cmp_le_i32 s[sgprLoopCounterL], 0x0              // counterL<=0
s_cbranch_scc1 TailLoopEndL_7                      // exit LoopL


/* tail loop unroll iter 6 */


/* local read a */

_ds_load_b32 v[vgprValuA_X6_I0+0], v[vgprLocalReadAddrA] offset:0 // L -> Reg lro=0 swapByteOffset=0 ti=128 vIdx=0 rIdx=0 oIdx=0 buffer=6 iui=0


/* local read b */

_ds_load_u8 v[vgprValuB_X6_I0+0], v[vgprLocalReadAddrB] offset:0 // L -> Reg lro=0 swapByteOffset=0 ti=32 vIdx=0 rIdx=0 oIdx=0 buffer=6 iui=0
_ds_load_u8 v59, v[vgprLocalReadAddrB] offset:96   // L -> Reg lro=0 swapByteOffset=0 ti=32 vIdx=0 rIdx=1 oIdx=0 buffer=6 iui=0
_ds_load_u8_d16_hi v60, v[vgprLocalReadAddrB] offset:192 // L -> Reg lro=0 swapByteOffset=0 ti=32 vIdx=0 rIdx=2 oIdx=0 buffer=6 iui=0
_ds_load_u8_d16_hi v61, v[vgprLocalReadAddrB] offset:288 // L -> Reg lro=0 swapByteOffset=0 ti=32 vIdx=0 rIdx=3 oIdx=0 buffer=6 iui=0
_ds_load_u8 v[vgprValuB_X6_I0+1], v[vgprLocalReadAddrB] offset:32 // L -> Reg lro=0 swapByteOffset=0 ti=32 vIdx=1 rIdx=0 oIdx=0 buffer=6 iui=0
_ds_load_u8 v62, v[vgprLocalReadAddrB] offset:128  // L -> Reg lro=0 swapByteOffset=0 ti=32 vIdx=1 rIdx=1 oIdx=0 buffer=6 iui=0
_ds_load_u8_d16_hi v63, v[vgprLocalReadAddrB] offset:224 // L -> Reg lro=0 swapByteOffset=0 ti=32 vIdx=1 rIdx=2 oIdx=0 buffer=6 iui=0
_ds_load_u8_d16_hi v64, v[vgprLocalReadAddrB] offset:320 // L -> Reg lro=0 swapByteOffset=0 ti=32 vIdx=1 rIdx=3 oIdx=0 buffer=6 iui=0
_ds_load_u8 v[vgprValuB_X6_I0+2], v[vgprLocalReadAddrB] offset:64 // L -> Reg lro=0 swapByteOffset=0 ti=32 vIdx=2 rIdx=0 oIdx=0 buffer=6 iui=0
_ds_load_u8 v65, v[vgprLocalReadAddrB] offset:160  // L -> Reg lro=0 swapByteOffset=0 ti=32 vIdx=2 rIdx=1 oIdx=0 buffer=6 iui=0
_ds_load_u8_d16_hi v66, v[vgprLocalReadAddrB] offset:256 // L -> Reg lro=0 swapByteOffset=0 ti=32 vIdx=2 rIdx=2 oIdx=0 buffer=6 iui=0
_ds_load_u8_d16_hi v67, v[vgprLocalReadAddrB] offset:352 // L -> Reg lro=0 swapByteOffset=0 ti=32 vIdx=2 rIdx=3 oIdx=0 buffer=6 iui=0


/* local read inc a */

s_mov_b32 s31, 0x8                                 // inc
_v_add_co_u32 v[vgprLocalReadAddrA], vcc, s31, v[vgprLocalReadAddrA] // lrA += 8 (LSU*bpe)


/* local read inc b */

s_mov_b32 s31, 0x300                               // inc
_v_add_co_u32 v[vgprLocalReadAddrB], vcc, s31, v[vgprLocalReadAddrB] // lrB += 768 (LSU*(MT+PAD)*bpe)

s_waitcnt lgkmcnt(0)                               // lgkmcnt=0 vmcnt=-14wait for local read

_v_lshl_or_b32 v[vgprValuB_X6_I0+0], v59, 0x8, v[vgprValuB_X6_I0+0] // pack two int8 Vgpr to one half Vgpr
_v_lshl_or_b32 v60, v61, 0x8, v60                  // pack two int8 Vgpr to one half Vgpr
v_or_b32 v[vgprValuB_X6_I0+0], v[vgprValuB_X6_I0+0], v60 // pack two half Vgpr to one Vgpr
_v_lshl_or_b32 v[vgprValuB_X6_I0+1], v62, 0x8, v[vgprValuB_X6_I0+1] // pack two int8 Vgpr to one half Vgpr
_v_lshl_or_b32 v63, v64, 0x8, v63                  // pack two int8 Vgpr to one half Vgpr
v_or_b32 v[vgprValuB_X6_I0+1], v[vgprValuB_X6_I0+1], v63 // pack two half Vgpr to one Vgpr
	;; [unrolled: 3-line block ×3, first 2 shown]


/* tail loop mfma iter 6: numReadsIterCoalescedA=1, numReadsIterCoalescedB=1 */
v_and_b32 v59, 63, v[vgprSerial]                   // v59 = v[vgprSerial] % 64
v_lshrrev_b32 v59, 5, v59                          // v59 = v59 / 32
v_lshlrev_b32 v59, 0x2, v59                        // v59 = v59 * 4
v_cmp_ge_i32 s[32:33], v59, s[sgprLoopCounterL]    // check K index >= Size L
v_cndmask_b32 v[vgprValuA_X6_I0+0+0+0+0], v[vgprValuA_X6_I0+0+0+0+0], 0x0, s[32:33] // set 0 if K_idx >= sizeL
_v_sub_u32 v59, s[sgprLoopCounterL], v59           // get distance between size and k index
v_cmp_lt_i32 s[32:33], v59, 4                      // set partial 0 if distance less than input per thread
s_and_b32 s34, s[sgprLoopCounterL], 3              // get inputs for edge thread
s_sub_u32 s34, 4, s34                              // use shift to fill 0 for outside element
s_lshl_b32 s34, s34, 3                             // use shift to fill 0 for outside element
v_mov_b32 v60, -1                                  // set 0xffffffff
v_lshrrev_b32 v60, s34, v60                        // rshift mask for partial k
v_cndmask_b32 v60, -1, v60, s[32:33]               // select shifted mask for partial k
v_and_b32 v[vgprValuA_X6_I0+0+0+0+0], v[vgprValuA_X6_I0+0+0+0+0], v60 // 
s_nop 1
v_mfma_i32_32x32x8i8 a[0+0:15+0], v[vgprValuA_X6_I0+0+0+0], v[vgprValuB_X6_I0+0+0+0], a[0:15]
v_mfma_i32_32x32x8i8 a[16+0:31+0], v[vgprValuA_X6_I0+0+0+0], v[vgprValuB_X6_I0+1+0+0], a[16:31]
	;; [unrolled: 1-line block ×3, first 2 shown]


/* closeLoop loopL finalLoop=0 tailLoop=1 */
s_sub_i32 s[sgprLoopCounterL], s[sgprLoopCounterL], 0x8 // dec counterL (tailLoop)
s_add_u32 s[sgprOrigLoopCounter], s[sgprOrigLoopCounter], 0x8 // inc counterL
s_cmp_le_i32 s[sgprLoopCounterL], 0x0              // counterL<=0
s_cbranch_scc1 TailLoopEndL_7                      // exit LoopL


/* tail loop unroll iter 7 */


/* local read a */

_ds_load_b32 v[vgprValuA_X7_I0+0], v[vgprLocalReadAddrA] offset:0 // L -> Reg lro=0 swapByteOffset=0 ti=128 vIdx=0 rIdx=0 oIdx=0 buffer=7 iui=0


/* local read b */

_ds_load_u8 v[vgprValuB_X7_I0+0], v[vgprLocalReadAddrB] offset:0 // L -> Reg lro=0 swapByteOffset=0 ti=32 vIdx=0 rIdx=0 oIdx=0 buffer=7 iui=0
_ds_load_u8 v59, v[vgprLocalReadAddrB] offset:96   // L -> Reg lro=0 swapByteOffset=0 ti=32 vIdx=0 rIdx=1 oIdx=0 buffer=7 iui=0
_ds_load_u8_d16_hi v60, v[vgprLocalReadAddrB] offset:192 // L -> Reg lro=0 swapByteOffset=0 ti=32 vIdx=0 rIdx=2 oIdx=0 buffer=7 iui=0
_ds_load_u8_d16_hi v61, v[vgprLocalReadAddrB] offset:288 // L -> Reg lro=0 swapByteOffset=0 ti=32 vIdx=0 rIdx=3 oIdx=0 buffer=7 iui=0
_ds_load_u8 v[vgprValuB_X7_I0+1], v[vgprLocalReadAddrB] offset:32 // L -> Reg lro=0 swapByteOffset=0 ti=32 vIdx=1 rIdx=0 oIdx=0 buffer=7 iui=0
_ds_load_u8 v62, v[vgprLocalReadAddrB] offset:128  // L -> Reg lro=0 swapByteOffset=0 ti=32 vIdx=1 rIdx=1 oIdx=0 buffer=7 iui=0
_ds_load_u8_d16_hi v63, v[vgprLocalReadAddrB] offset:224 // L -> Reg lro=0 swapByteOffset=0 ti=32 vIdx=1 rIdx=2 oIdx=0 buffer=7 iui=0
_ds_load_u8_d16_hi v64, v[vgprLocalReadAddrB] offset:320 // L -> Reg lro=0 swapByteOffset=0 ti=32 vIdx=1 rIdx=3 oIdx=0 buffer=7 iui=0
_ds_load_u8 v[vgprValuB_X7_I0+2], v[vgprLocalReadAddrB] offset:64 // L -> Reg lro=0 swapByteOffset=0 ti=32 vIdx=2 rIdx=0 oIdx=0 buffer=7 iui=0
_ds_load_u8 v65, v[vgprLocalReadAddrB] offset:160  // L -> Reg lro=0 swapByteOffset=0 ti=32 vIdx=2 rIdx=1 oIdx=0 buffer=7 iui=0
_ds_load_u8_d16_hi v66, v[vgprLocalReadAddrB] offset:256 // L -> Reg lro=0 swapByteOffset=0 ti=32 vIdx=2 rIdx=2 oIdx=0 buffer=7 iui=0
_ds_load_u8_d16_hi v67, v[vgprLocalReadAddrB] offset:352 // L -> Reg lro=0 swapByteOffset=0 ti=32 vIdx=2 rIdx=3 oIdx=0 buffer=7 iui=0


/* local read inc a */

s_mov_b32 s31, 0x8                                 // inc
_v_add_co_u32 v[vgprLocalReadAddrA], vcc, s31, v[vgprLocalReadAddrA] // lrA += 8 (LSU*bpe)


/* local read inc b */

s_mov_b32 s31, 0x300                               // inc
_v_add_co_u32 v[vgprLocalReadAddrB], vcc, s31, v[vgprLocalReadAddrB] // lrB += 768 (LSU*(MT+PAD)*bpe)

s_waitcnt lgkmcnt(0)                               // lgkmcnt=0 vmcnt=-14wait for local read

_v_lshl_or_b32 v[vgprValuB_X7_I0+0], v59, 0x8, v[vgprValuB_X7_I0+0] // pack two int8 Vgpr to one half Vgpr
_v_lshl_or_b32 v60, v61, 0x8, v60                  // pack two int8 Vgpr to one half Vgpr
v_or_b32 v[vgprValuB_X7_I0+0], v[vgprValuB_X7_I0+0], v60 // pack two half Vgpr to one Vgpr
_v_lshl_or_b32 v[vgprValuB_X7_I0+1], v62, 0x8, v[vgprValuB_X7_I0+1] // pack two int8 Vgpr to one half Vgpr
_v_lshl_or_b32 v63, v64, 0x8, v63                  // pack two int8 Vgpr to one half Vgpr
v_or_b32 v[vgprValuB_X7_I0+1], v[vgprValuB_X7_I0+1], v63 // pack two half Vgpr to one Vgpr
	;; [unrolled: 3-line block ×3, first 2 shown]


/* tail loop mfma iter 7: numReadsIterCoalescedA=1, numReadsIterCoalescedB=1 */
v_and_b32 v59, 63, v[vgprSerial]                   // v59 = v[vgprSerial] % 64
v_lshrrev_b32 v59, 5, v59                          // v59 = v59 / 32
v_lshlrev_b32 v59, 0x2, v59                        // v59 = v59 * 4
v_cmp_ge_i32 s[32:33], v59, s[sgprLoopCounterL]    // check K index >= Size L
v_cndmask_b32 v[vgprValuA_X7_I0+0+0+0+0], v[vgprValuA_X7_I0+0+0+0+0], 0x0, s[32:33] // set 0 if K_idx >= sizeL
_v_sub_u32 v59, s[sgprLoopCounterL], v59           // get distance between size and k index
v_cmp_lt_i32 s[32:33], v59, 4                      // set partial 0 if distance less than input per thread
s_and_b32 s34, s[sgprLoopCounterL], 3              // get inputs for edge thread
s_sub_u32 s34, 4, s34                              // use shift to fill 0 for outside element
s_lshl_b32 s34, s34, 3                             // use shift to fill 0 for outside element
v_mov_b32 v60, -1                                  // set 0xffffffff
v_lshrrev_b32 v60, s34, v60                        // rshift mask for partial k
v_cndmask_b32 v60, -1, v60, s[32:33]               // select shifted mask for partial k
v_and_b32 v[vgprValuA_X7_I0+0+0+0+0], v[vgprValuA_X7_I0+0+0+0+0], v60 // 
s_nop 1
v_mfma_i32_32x32x8i8 a[0+0:15+0], v[vgprValuA_X7_I0+0+0+0], v[vgprValuB_X7_I0+0+0+0], a[0:15]
v_mfma_i32_32x32x8i8 a[16+0:31+0], v[vgprValuA_X7_I0+0+0+0], v[vgprValuB_X7_I0+1+0+0], a[16:31]
	;; [unrolled: 1-line block ×3, first 2 shown]


/* closeLoop loopL finalLoop=1 tailLoop=1 */
s_sub_i32 s[sgprLoopCounterL], s[sgprLoopCounterL], 0x8 // dec counterL (tailLoop)
s_add_u32 s[sgprOrigLoopCounter], s[sgprOrigLoopCounter], 0x8 // inc counterL
s_cmp_le_i32 s[sgprLoopCounterL], 0x0              // counterL<=0
s_cbranch_scc0 TailLoopBeginL_6                    // restart LoopL
TailLoopEndL_7:

SkipTailLoopL_8:

Summation_End_29:
/* endSummation: add vgpr [0...56) to pool */
.set NumFullBlocks, UNDEF
.set WgmRemainder1, UNDEF
.set MagicNumberWgmRemainder1, UNDEF

/* Mapping of Acc register -> C Vgpr register */


/* shift vector components d1 */

v_mov_b32 v1, s[sgprWorkGroup1]                    // 
v_mul_i32_i24 v1, -0x60, v1                        // wg*MT
_v_add_co_u32 v1, vcc, s[sgprSizesFree+1], v1      // wgMT = Size - wg*MT
v_mov_b32 v2, 0x60                                 // MT
v_min_u32 v1, v2, v1                               // wgMT = (wgMT < MT) ? wgMT : MT
v_lshrrev_b32 v0, 8, v[vgprSerial]                 // v0 = v[vgprSerial] / 256
v_and_b32 v3, 0, v0                                // v3 = v0 % 1
v_lshrrev_b32 v0, 5, v1                            // v0 = v1 / 32
v_and_b32 v4, 0, v0                                // v4 = v0 % 1
v_cmp_eq_u32 s[32:33], v4, v3                      // wave_id == block_belong_to_wave?
v_cndmask_b32 v1, v2, v1, s[32:33]                 // wgMT = (wgMT < MT) ? wgMT : MT

/* mbReg: which mb block need to shift, mb(matrixInstCoal(32) * VectorWidth(1)) */
v_lshrrev_b32 v2, 5, v1                            // v2 = v1 / 32
v_lshlrev_b32 v4, 0x0, v3                          // v4 = v3 * 1
_v_sub_u32 v2, v2, v4                              // 

/* gbReg: glvw block id */
v_lshrrev_b32 v4, 3, v1                            // v4 = v1 / 8

/* tgbReg: glvw block id */
v_lshrrev_b32 v0, 0, v[vgprSerial]                 // v0 = v[vgprSerial] / 1
v_and_b32 v5, 31, v0                               // v5 = v0 % 32
                                                   // v5 = v5 * 1 (multiplier is 1, do nothing)
v_lshrrev_b32 v5, 3, v5                            // v5 = v5 / 8
v_lshlrev_b32 v3, 0x2, v3                          // v3 = v3 * 4
_v_add_co_u32 v5, vcc, v3, v5                      // tgbReg = (tid_coal * continOut) / GLVW
_v_sub_u32 v4, v4, v5                              // 

/* vwReg: glvw in which vw block? */
v_and_b32 v3, 0, v1                                // permute register between threads
v_lshrrev_b32 v3, 3, v3                            // permute register between threads

/* rReg : reminder of M_size % GlobalLoadVectorWidth */
v_and_b32 v5, 7, v1                                // v5 = v1 % 8
v_cmp_eq_u32 vcc, v5, 0x1                          // wgMT%VW == 1
s_cbranch_vccnz label_0030                         // branch to shift d1 r=1
v_cmp_eq_u32 vcc, v5, 0x2                          // wgMT%VW == 2
s_cbranch_vccnz label_0037                         // branch to shift d1 r=2
v_cmp_eq_u32 vcc, v5, 0x3                          // wgMT%VW == 3
s_cbranch_vccnz label_0044                         // branch to shift d1 r=3
v_cmp_eq_u32 vcc, v5, 0x4                          // wgMT%VW == 4
s_cbranch_vccnz label_0051                         // branch to shift d1 r=4
v_cmp_eq_u32 vcc, v5, 0x5                          // wgMT%VW == 5
s_cbranch_vccnz label_0058                         // branch to shift d1 r=5
v_cmp_eq_u32 vcc, v5, 0x6                          // wgMT%VW == 6
s_cbranch_vccnz label_0065                         // branch to shift d1 r=6
v_cmp_eq_u32 vcc, v5, 0x7                          // wgMT%VW == 7
s_cbranch_vccnz label_0072                         // branch to shift d1 r=7
s_branch label_0079                                // no shifting

/******************************************/
/* shift d1 r=1                           */
/******************************************/
label_0030:
v_cmp_eq_u32 vcc, v2, 0x0                          // 
s_cbranch_vccnz label_0031                         // branch to shift d1 r1 mb0
v_cmp_eq_u32 vcc, v2, 0x1                          // 
s_cbranch_vccnz label_0033                         // branch to shift d1 r1 mb1
v_cmp_eq_u32 vcc, v2, 0x2                          // 
s_cbranch_vccnz label_0035                         // branch to shift d1 r1 mb2

/******************************************/
/* shift d1 r=2                           */
/******************************************/
label_0037:
v_cmp_eq_u32 vcc, v2, 0x0                          // 
s_cbranch_vccnz label_0038                         // branch to shift d1 r2 mb0
v_cmp_eq_u32 vcc, v2, 0x1                          // 
s_cbranch_vccnz label_0040                         // branch to shift d1 r2 mb1
v_cmp_eq_u32 vcc, v2, 0x2                          // 
s_cbranch_vccnz label_0042                         // branch to shift d1 r2 mb2

/******************************************/
/* shift d1 r=3                           */
/******************************************/
label_0044:
v_cmp_eq_u32 vcc, v2, 0x0                          // 
s_cbranch_vccnz label_0045                         // branch to shift d1 r3 mb0
v_cmp_eq_u32 vcc, v2, 0x1                          // 
s_cbranch_vccnz label_0047                         // branch to shift d1 r3 mb1
v_cmp_eq_u32 vcc, v2, 0x2                          // 
s_cbranch_vccnz label_0049                         // branch to shift d1 r3 mb2

/******************************************/
/* shift d1 r=4                           */
/******************************************/
label_0051:
v_cmp_eq_u32 vcc, v2, 0x0                          // 
s_cbranch_vccnz label_0052                         // branch to shift d1 r4 mb0
v_cmp_eq_u32 vcc, v2, 0x1                          // 
s_cbranch_vccnz label_0054                         // branch to shift d1 r4 mb1
v_cmp_eq_u32 vcc, v2, 0x2                          // 
s_cbranch_vccnz label_0056                         // branch to shift d1 r4 mb2

/******************************************/
/* shift d1 r=5                           */
/******************************************/
label_0058:
v_cmp_eq_u32 vcc, v2, 0x0                          // 
s_cbranch_vccnz label_0059                         // branch to shift d1 r5 mb0
v_cmp_eq_u32 vcc, v2, 0x1                          // 
s_cbranch_vccnz label_0061                         // branch to shift d1 r5 mb1
v_cmp_eq_u32 vcc, v2, 0x2                          // 
s_cbranch_vccnz label_0063                         // branch to shift d1 r5 mb2

/******************************************/
/* shift d1 r=6                           */
/******************************************/
label_0065:
v_cmp_eq_u32 vcc, v2, 0x0                          // 
s_cbranch_vccnz label_0066                         // branch to shift d1 r6 mb0
v_cmp_eq_u32 vcc, v2, 0x1                          // 
s_cbranch_vccnz label_0068                         // branch to shift d1 r6 mb1
v_cmp_eq_u32 vcc, v2, 0x2                          // 
s_cbranch_vccnz label_0070                         // branch to shift d1 r6 mb2

/******************************************/
/* shift d1 r=7                           */
/******************************************/
label_0072:
v_cmp_eq_u32 vcc, v2, 0x0                          // 
s_cbranch_vccnz label_0073                         // branch to shift d1 r7 mb0
v_cmp_eq_u32 vcc, v2, 0x1                          // 
s_cbranch_vccnz label_0075                         // branch to shift d1 r7 mb1
v_cmp_eq_u32 vcc, v2, 0x2                          // 
s_cbranch_vccnz label_0077                         // branch to shift d1 r7 mb2

/******************************************/
/* shift d1 r=1 mb=0                      */
/******************************************/
label_0031: // r1 mb0 
v_cmp_eq_u32 vcc, v3, 0x0                          // 
s_cbranch_vccnz label_0032                         // branch to shift d1 r1 mb0 vw0

/******************************************/
/* shift d1 r=1 mb=1                      */
/******************************************/
label_0033: // r1 mb1 
v_cmp_eq_u32 vcc, v3, 0x0                          // 
s_cbranch_vccnz label_0034                         // branch to shift d1 r1 mb1 vw0

/******************************************/
/* shift d1 r=1 mb=2                      */
/******************************************/
label_0035: // r1 mb2 
v_cmp_eq_u32 vcc, v3, 0x0                          // 
s_cbranch_vccnz label_0036                         // branch to shift d1 r1 mb2 vw0

/******************************************/
/* shift d1 r=2 mb=0                      */
/******************************************/
label_0038: // r2 mb0 
v_cmp_eq_u32 vcc, v3, 0x0                          // 
s_cbranch_vccnz label_0039                         // branch to shift d1 r2 mb0 vw0

/******************************************/
/* shift d1 r=2 mb=1                      */
/******************************************/
label_0040: // r2 mb1 
v_cmp_eq_u32 vcc, v3, 0x0                          // 
s_cbranch_vccnz label_0041                         // branch to shift d1 r2 mb1 vw0

/******************************************/
/* shift d1 r=2 mb=2                      */
/******************************************/
label_0042: // r2 mb2 
v_cmp_eq_u32 vcc, v3, 0x0                          // 
s_cbranch_vccnz label_0043                         // branch to shift d1 r2 mb2 vw0

/******************************************/
/* shift d1 r=3 mb=0                      */
/******************************************/
label_0045: // r3 mb0 
v_cmp_eq_u32 vcc, v3, 0x0                          // 
s_cbranch_vccnz label_0046                         // branch to shift d1 r3 mb0 vw0

/******************************************/
/* shift d1 r=3 mb=1                      */
/******************************************/
label_0047: // r3 mb1 
v_cmp_eq_u32 vcc, v3, 0x0                          // 
s_cbranch_vccnz label_0048                         // branch to shift d1 r3 mb1 vw0

/******************************************/
/* shift d1 r=3 mb=2                      */
/******************************************/
label_0049: // r3 mb2 
v_cmp_eq_u32 vcc, v3, 0x0                          // 
s_cbranch_vccnz label_0050                         // branch to shift d1 r3 mb2 vw0

/******************************************/
/* shift d1 r=4 mb=0                      */
/******************************************/
label_0052: // r4 mb0 
v_cmp_eq_u32 vcc, v3, 0x0                          // 
s_cbranch_vccnz label_0053                         // branch to shift d1 r4 mb0 vw0

/******************************************/
/* shift d1 r=4 mb=1                      */
/******************************************/
label_0054: // r4 mb1 
v_cmp_eq_u32 vcc, v3, 0x0                          // 
s_cbranch_vccnz label_0055                         // branch to shift d1 r4 mb1 vw0

/******************************************/
/* shift d1 r=4 mb=2                      */
/******************************************/
label_0056: // r4 mb2 
v_cmp_eq_u32 vcc, v3, 0x0                          // 
s_cbranch_vccnz label_0057                         // branch to shift d1 r4 mb2 vw0

/******************************************/
/* shift d1 r=5 mb=0                      */
/******************************************/
label_0059: // r5 mb0 
v_cmp_eq_u32 vcc, v3, 0x0                          // 
s_cbranch_vccnz label_0060                         // branch to shift d1 r5 mb0 vw0

/******************************************/
/* shift d1 r=5 mb=1                      */
/******************************************/
label_0061: // r5 mb1 
v_cmp_eq_u32 vcc, v3, 0x0                          // 
s_cbranch_vccnz label_0062                         // branch to shift d1 r5 mb1 vw0

/******************************************/
/* shift d1 r=5 mb=2                      */
/******************************************/
label_0063: // r5 mb2 
v_cmp_eq_u32 vcc, v3, 0x0                          // 
s_cbranch_vccnz label_0064                         // branch to shift d1 r5 mb2 vw0

/******************************************/
/* shift d1 r=6 mb=0                      */
/******************************************/
label_0066: // r6 mb0 
v_cmp_eq_u32 vcc, v3, 0x0                          // 
s_cbranch_vccnz label_0067                         // branch to shift d1 r6 mb0 vw0

/******************************************/
/* shift d1 r=6 mb=1                      */
/******************************************/
label_0068: // r6 mb1 
v_cmp_eq_u32 vcc, v3, 0x0                          // 
s_cbranch_vccnz label_0069                         // branch to shift d1 r6 mb1 vw0

/******************************************/
/* shift d1 r=6 mb=2                      */
/******************************************/
label_0070: // r6 mb2 
v_cmp_eq_u32 vcc, v3, 0x0                          // 
s_cbranch_vccnz label_0071                         // branch to shift d1 r6 mb2 vw0

/******************************************/
/* shift d1 r=7 mb=0                      */
/******************************************/
label_0073: // r7 mb0 
v_cmp_eq_u32 vcc, v3, 0x0                          // 
s_cbranch_vccnz label_0074                         // branch to shift d1 r7 mb0 vw0

/******************************************/
/* shift d1 r=7 mb=1                      */
/******************************************/
label_0075: // r7 mb1 
v_cmp_eq_u32 vcc, v3, 0x0                          // 
s_cbranch_vccnz label_0076                         // branch to shift d1 r7 mb1 vw0

/******************************************/
/* shift d1 r=7 mb=2                      */
/******************************************/
label_0077: // r7 mb2 
v_cmp_eq_u32 vcc, v3, 0x0                          // 
s_cbranch_vccnz label_0078                         // branch to shift d1 r7 mb2 vw0

/******************************************/
/* shift d1 r=1 mb=0 vw0                  */
/******************************************/
label_0032: // r1 mb0 vw0 
s_mov_b32 s32, 0                                   // 
_v_cmpx_eq_u32 s[32:33], v4, s32                   // is thread in edge glvw region
v_and_b32 v0, 63, v[vgprSerial]                    // permute register between threads
v_lshlrev_b32 v0, 2, v0                            // permute register between threads
v_accvgpr_read_b32 v5, acc0                        // glvw 1 mb 0 tt1 0 r 0
s_nop 1                                            // v_accvgpr read vgpr after write vgpr: 2 wait states
ds_bpermute_b32 v5, v0, v5, offset:28              // permute edge values
s_waitcnt 0                                        // wait for swizzle operation
v_accvgpr_write_b32 acc0, v5                       // 
v_accvgpr_read_b32 v5, acc1                        // glvw 1 mb 0 tt1 1 r 0
s_nop 1                                            // v_accvgpr read vgpr after write vgpr: 2 wait states
ds_bpermute_b32 v5, v0, v5, offset:28              // permute edge values
s_waitcnt 0                                        // wait for swizzle operation
v_accvgpr_write_b32 acc1, v5                       // 
v_accvgpr_read_b32 v5, acc2                        // glvw 1 mb 0 tt1 2 r 0
s_nop 1                                            // v_accvgpr read vgpr after write vgpr: 2 wait states
ds_bpermute_b32 v5, v0, v5, offset:28              // permute edge values
s_waitcnt 0                                        // wait for swizzle operation
v_accvgpr_write_b32 acc2, v5                       // 
v_accvgpr_read_b32 v5, acc3                        // glvw 1 mb 0 tt1 3 r 0
s_nop 1                                            // v_accvgpr read vgpr after write vgpr: 2 wait states
ds_bpermute_b32 v5, v0, v5, offset:28              // permute edge values
s_waitcnt 0                                        // wait for swizzle operation
v_accvgpr_write_b32 acc3, v5                       // 
v_accvgpr_read_b32 v5, acc4                        // glvw 1 mb 0 tt1 4 r 0
s_nop 1                                            // v_accvgpr read vgpr after write vgpr: 2 wait states
ds_bpermute_b32 v5, v0, v5, offset:28              // permute edge values
s_waitcnt 0                                        // wait for swizzle operation
v_accvgpr_write_b32 acc4, v5                       // 
v_accvgpr_read_b32 v5, acc5                        // glvw 1 mb 0 tt1 5 r 0
s_nop 1                                            // v_accvgpr read vgpr after write vgpr: 2 wait states
ds_bpermute_b32 v5, v0, v5, offset:28              // permute edge values
s_waitcnt 0                                        // wait for swizzle operation
v_accvgpr_write_b32 acc5, v5                       // 
v_accvgpr_read_b32 v5, acc6                        // glvw 1 mb 0 tt1 6 r 0
s_nop 1                                            // v_accvgpr read vgpr after write vgpr: 2 wait states
ds_bpermute_b32 v5, v0, v5, offset:28              // permute edge values
s_waitcnt 0                                        // wait for swizzle operation
v_accvgpr_write_b32 acc6, v5                       // 
v_accvgpr_read_b32 v5, acc7                        // glvw 1 mb 0 tt1 7 r 0
s_nop 1                                            // v_accvgpr read vgpr after write vgpr: 2 wait states
ds_bpermute_b32 v5, v0, v5, offset:28              // permute edge values
s_waitcnt 0                                        // wait for swizzle operation
v_accvgpr_write_b32 acc7, v5                       // 
v_accvgpr_read_b32 v5, acc8                        // glvw 1 mb 0 tt1 8 r 0
s_nop 1                                            // v_accvgpr read vgpr after write vgpr: 2 wait states
ds_bpermute_b32 v5, v0, v5, offset:28              // permute edge values
s_waitcnt 0                                        // wait for swizzle operation
v_accvgpr_write_b32 acc8, v5                       // 
v_accvgpr_read_b32 v5, acc9                        // glvw 1 mb 0 tt1 9 r 0
s_nop 1                                            // v_accvgpr read vgpr after write vgpr: 2 wait states
ds_bpermute_b32 v5, v0, v5, offset:28              // permute edge values
s_waitcnt 0                                        // wait for swizzle operation
v_accvgpr_write_b32 acc9, v5                       // 
v_accvgpr_read_b32 v5, acc10                       // glvw 1 mb 0 tt1 10 r 0
s_nop 1                                            // v_accvgpr read vgpr after write vgpr: 2 wait states
ds_bpermute_b32 v5, v0, v5, offset:28              // permute edge values
s_waitcnt 0                                        // wait for swizzle operation
v_accvgpr_write_b32 acc10, v5                      // 
v_accvgpr_read_b32 v5, acc11                       // glvw 1 mb 0 tt1 11 r 0
s_nop 1                                            // v_accvgpr read vgpr after write vgpr: 2 wait states
ds_bpermute_b32 v5, v0, v5, offset:28              // permute edge values
s_waitcnt 0                                        // wait for swizzle operation
v_accvgpr_write_b32 acc11, v5                      // 
v_accvgpr_read_b32 v5, acc12                       // glvw 1 mb 0 tt1 12 r 0
s_nop 1                                            // v_accvgpr read vgpr after write vgpr: 2 wait states
ds_bpermute_b32 v5, v0, v5, offset:28              // permute edge values
s_waitcnt 0                                        // wait for swizzle operation
v_accvgpr_write_b32 acc12, v5                      // 
v_accvgpr_read_b32 v5, acc13                       // glvw 1 mb 0 tt1 13 r 0
s_nop 1                                            // v_accvgpr read vgpr after write vgpr: 2 wait states
ds_bpermute_b32 v5, v0, v5, offset:28              // permute edge values
s_waitcnt 0                                        // wait for swizzle operation
v_accvgpr_write_b32 acc13, v5                      // 
v_accvgpr_read_b32 v5, acc14                       // glvw 1 mb 0 tt1 14 r 0
s_nop 1                                            // v_accvgpr read vgpr after write vgpr: 2 wait states
ds_bpermute_b32 v5, v0, v5, offset:28              // permute edge values
s_waitcnt 0                                        // wait for swizzle operation
v_accvgpr_write_b32 acc14, v5                      // 
v_accvgpr_read_b32 v5, acc15                       // glvw 1 mb 0 tt1 15 r 0
s_nop 1                                            // v_accvgpr read vgpr after write vgpr: 2 wait states
ds_bpermute_b32 v5, v0, v5, offset:28              // permute edge values
s_waitcnt 0                                        // wait for swizzle operation
v_accvgpr_write_b32 acc15, v5                      // 
s_mov_b64 s[32:33], 0xFFFFFFFFFFFFFFFF             // to restore all threads active
s_or_saveexec_b64 vcc, s[32:33]                    // all threads active
s_branch label_0079                                // done shifting


/******************************************/
/* shift d1 r=1 mb=1 vw0                  */
/******************************************/
label_0034: // r1 mb1 vw0 
s_mov_b32 s32, 4                                   // 
_v_cmpx_eq_u32 s[32:33], v4, s32                   // is thread in edge glvw region
v_and_b32 v0, 63, v[vgprSerial]                    // permute register between threads
v_lshlrev_b32 v0, 2, v0                            // permute register between threads
v_accvgpr_read_b32 v5, acc16                       // glvw 1 mb 1 tt1 0 r 0
s_nop 1                                            // v_accvgpr read vgpr after write vgpr: 2 wait states
ds_bpermute_b32 v5, v0, v5, offset:28              // permute edge values
s_waitcnt 0                                        // wait for swizzle operation
v_accvgpr_write_b32 acc16, v5                      // 
v_accvgpr_read_b32 v5, acc17                       // glvw 1 mb 1 tt1 1 r 0
s_nop 1                                            // v_accvgpr read vgpr after write vgpr: 2 wait states
ds_bpermute_b32 v5, v0, v5, offset:28              // permute edge values
s_waitcnt 0                                        // wait for swizzle operation
v_accvgpr_write_b32 acc17, v5                      // 
v_accvgpr_read_b32 v5, acc18                       // glvw 1 mb 1 tt1 2 r 0
s_nop 1                                            // v_accvgpr read vgpr after write vgpr: 2 wait states
ds_bpermute_b32 v5, v0, v5, offset:28              // permute edge values
s_waitcnt 0                                        // wait for swizzle operation
v_accvgpr_write_b32 acc18, v5                      // 
v_accvgpr_read_b32 v5, acc19                       // glvw 1 mb 1 tt1 3 r 0
s_nop 1                                            // v_accvgpr read vgpr after write vgpr: 2 wait states
ds_bpermute_b32 v5, v0, v5, offset:28              // permute edge values
s_waitcnt 0                                        // wait for swizzle operation
v_accvgpr_write_b32 acc19, v5                      // 
v_accvgpr_read_b32 v5, acc20                       // glvw 1 mb 1 tt1 4 r 0
s_nop 1                                            // v_accvgpr read vgpr after write vgpr: 2 wait states
ds_bpermute_b32 v5, v0, v5, offset:28              // permute edge values
s_waitcnt 0                                        // wait for swizzle operation
v_accvgpr_write_b32 acc20, v5                      // 
v_accvgpr_read_b32 v5, acc21                       // glvw 1 mb 1 tt1 5 r 0
s_nop 1                                            // v_accvgpr read vgpr after write vgpr: 2 wait states
ds_bpermute_b32 v5, v0, v5, offset:28              // permute edge values
s_waitcnt 0                                        // wait for swizzle operation
v_accvgpr_write_b32 acc21, v5                      // 
v_accvgpr_read_b32 v5, acc22                       // glvw 1 mb 1 tt1 6 r 0
s_nop 1                                            // v_accvgpr read vgpr after write vgpr: 2 wait states
ds_bpermute_b32 v5, v0, v5, offset:28              // permute edge values
s_waitcnt 0                                        // wait for swizzle operation
v_accvgpr_write_b32 acc22, v5                      // 
v_accvgpr_read_b32 v5, acc23                       // glvw 1 mb 1 tt1 7 r 0
s_nop 1                                            // v_accvgpr read vgpr after write vgpr: 2 wait states
ds_bpermute_b32 v5, v0, v5, offset:28              // permute edge values
s_waitcnt 0                                        // wait for swizzle operation
v_accvgpr_write_b32 acc23, v5                      // 
v_accvgpr_read_b32 v5, acc24                       // glvw 1 mb 1 tt1 8 r 0
s_nop 1                                            // v_accvgpr read vgpr after write vgpr: 2 wait states
ds_bpermute_b32 v5, v0, v5, offset:28              // permute edge values
s_waitcnt 0                                        // wait for swizzle operation
v_accvgpr_write_b32 acc24, v5                      // 
v_accvgpr_read_b32 v5, acc25                       // glvw 1 mb 1 tt1 9 r 0
s_nop 1                                            // v_accvgpr read vgpr after write vgpr: 2 wait states
ds_bpermute_b32 v5, v0, v5, offset:28              // permute edge values
s_waitcnt 0                                        // wait for swizzle operation
v_accvgpr_write_b32 acc25, v5                      // 
v_accvgpr_read_b32 v5, acc26                       // glvw 1 mb 1 tt1 10 r 0
s_nop 1                                            // v_accvgpr read vgpr after write vgpr: 2 wait states
ds_bpermute_b32 v5, v0, v5, offset:28              // permute edge values
s_waitcnt 0                                        // wait for swizzle operation
v_accvgpr_write_b32 acc26, v5                      // 
v_accvgpr_read_b32 v5, acc27                       // glvw 1 mb 1 tt1 11 r 0
s_nop 1                                            // v_accvgpr read vgpr after write vgpr: 2 wait states
ds_bpermute_b32 v5, v0, v5, offset:28              // permute edge values
s_waitcnt 0                                        // wait for swizzle operation
v_accvgpr_write_b32 acc27, v5                      // 
v_accvgpr_read_b32 v5, acc28                       // glvw 1 mb 1 tt1 12 r 0
s_nop 1                                            // v_accvgpr read vgpr after write vgpr: 2 wait states
ds_bpermute_b32 v5, v0, v5, offset:28              // permute edge values
s_waitcnt 0                                        // wait for swizzle operation
v_accvgpr_write_b32 acc28, v5                      // 
v_accvgpr_read_b32 v5, acc29                       // glvw 1 mb 1 tt1 13 r 0
s_nop 1                                            // v_accvgpr read vgpr after write vgpr: 2 wait states
ds_bpermute_b32 v5, v0, v5, offset:28              // permute edge values
s_waitcnt 0                                        // wait for swizzle operation
v_accvgpr_write_b32 acc29, v5                      // 
v_accvgpr_read_b32 v5, acc30                       // glvw 1 mb 1 tt1 14 r 0
s_nop 1                                            // v_accvgpr read vgpr after write vgpr: 2 wait states
ds_bpermute_b32 v5, v0, v5, offset:28              // permute edge values
s_waitcnt 0                                        // wait for swizzle operation
v_accvgpr_write_b32 acc30, v5                      // 
v_accvgpr_read_b32 v5, acc31                       // glvw 1 mb 1 tt1 15 r 0
s_nop 1                                            // v_accvgpr read vgpr after write vgpr: 2 wait states
ds_bpermute_b32 v5, v0, v5, offset:28              // permute edge values
s_waitcnt 0                                        // wait for swizzle operation
v_accvgpr_write_b32 acc31, v5                      // 
s_mov_b64 s[32:33], 0xFFFFFFFFFFFFFFFF             // to restore all threads active
s_or_saveexec_b64 vcc, s[32:33]                    // all threads active
s_branch label_0079                                // done shifting


/******************************************/
/* shift d1 r=1 mb=2 vw0                  */
/******************************************/
label_0036: // r1 mb2 vw0 
s_mov_b32 s32, 8                                   // 
_v_cmpx_eq_u32 s[32:33], v4, s32                   // is thread in edge glvw region
v_and_b32 v0, 63, v[vgprSerial]                    // permute register between threads
v_lshlrev_b32 v0, 2, v0                            // permute register between threads
v_accvgpr_read_b32 v5, acc32                       // glvw 1 mb 2 tt1 0 r 0
s_nop 1                                            // v_accvgpr read vgpr after write vgpr: 2 wait states
ds_bpermute_b32 v5, v0, v5, offset:28              // permute edge values
s_waitcnt 0                                        // wait for swizzle operation
v_accvgpr_write_b32 acc32, v5                      // 
v_accvgpr_read_b32 v5, acc33                       // glvw 1 mb 2 tt1 1 r 0
s_nop 1                                            // v_accvgpr read vgpr after write vgpr: 2 wait states
ds_bpermute_b32 v5, v0, v5, offset:28              // permute edge values
s_waitcnt 0                                        // wait for swizzle operation
v_accvgpr_write_b32 acc33, v5                      // 
v_accvgpr_read_b32 v5, acc34                       // glvw 1 mb 2 tt1 2 r 0
s_nop 1                                            // v_accvgpr read vgpr after write vgpr: 2 wait states
ds_bpermute_b32 v5, v0, v5, offset:28              // permute edge values
s_waitcnt 0                                        // wait for swizzle operation
v_accvgpr_write_b32 acc34, v5                      // 
v_accvgpr_read_b32 v5, acc35                       // glvw 1 mb 2 tt1 3 r 0
s_nop 1                                            // v_accvgpr read vgpr after write vgpr: 2 wait states
ds_bpermute_b32 v5, v0, v5, offset:28              // permute edge values
s_waitcnt 0                                        // wait for swizzle operation
v_accvgpr_write_b32 acc35, v5                      // 
v_accvgpr_read_b32 v5, acc36                       // glvw 1 mb 2 tt1 4 r 0
s_nop 1                                            // v_accvgpr read vgpr after write vgpr: 2 wait states
ds_bpermute_b32 v5, v0, v5, offset:28              // permute edge values
s_waitcnt 0                                        // wait for swizzle operation
v_accvgpr_write_b32 acc36, v5                      // 
v_accvgpr_read_b32 v5, acc37                       // glvw 1 mb 2 tt1 5 r 0
s_nop 1                                            // v_accvgpr read vgpr after write vgpr: 2 wait states
ds_bpermute_b32 v5, v0, v5, offset:28              // permute edge values
s_waitcnt 0                                        // wait for swizzle operation
v_accvgpr_write_b32 acc37, v5                      // 
v_accvgpr_read_b32 v5, acc38                       // glvw 1 mb 2 tt1 6 r 0
s_nop 1                                            // v_accvgpr read vgpr after write vgpr: 2 wait states
ds_bpermute_b32 v5, v0, v5, offset:28              // permute edge values
s_waitcnt 0                                        // wait for swizzle operation
v_accvgpr_write_b32 acc38, v5                      // 
v_accvgpr_read_b32 v5, acc39                       // glvw 1 mb 2 tt1 7 r 0
s_nop 1                                            // v_accvgpr read vgpr after write vgpr: 2 wait states
ds_bpermute_b32 v5, v0, v5, offset:28              // permute edge values
s_waitcnt 0                                        // wait for swizzle operation
v_accvgpr_write_b32 acc39, v5                      // 
v_accvgpr_read_b32 v5, acc40                       // glvw 1 mb 2 tt1 8 r 0
s_nop 1                                            // v_accvgpr read vgpr after write vgpr: 2 wait states
ds_bpermute_b32 v5, v0, v5, offset:28              // permute edge values
s_waitcnt 0                                        // wait for swizzle operation
v_accvgpr_write_b32 acc40, v5                      // 
v_accvgpr_read_b32 v5, acc41                       // glvw 1 mb 2 tt1 9 r 0
s_nop 1                                            // v_accvgpr read vgpr after write vgpr: 2 wait states
ds_bpermute_b32 v5, v0, v5, offset:28              // permute edge values
s_waitcnt 0                                        // wait for swizzle operation
v_accvgpr_write_b32 acc41, v5                      // 
v_accvgpr_read_b32 v5, acc42                       // glvw 1 mb 2 tt1 10 r 0
s_nop 1                                            // v_accvgpr read vgpr after write vgpr: 2 wait states
ds_bpermute_b32 v5, v0, v5, offset:28              // permute edge values
s_waitcnt 0                                        // wait for swizzle operation
v_accvgpr_write_b32 acc42, v5                      // 
v_accvgpr_read_b32 v5, acc43                       // glvw 1 mb 2 tt1 11 r 0
s_nop 1                                            // v_accvgpr read vgpr after write vgpr: 2 wait states
ds_bpermute_b32 v5, v0, v5, offset:28              // permute edge values
s_waitcnt 0                                        // wait for swizzle operation
v_accvgpr_write_b32 acc43, v5                      // 
v_accvgpr_read_b32 v5, acc44                       // glvw 1 mb 2 tt1 12 r 0
s_nop 1                                            // v_accvgpr read vgpr after write vgpr: 2 wait states
ds_bpermute_b32 v5, v0, v5, offset:28              // permute edge values
s_waitcnt 0                                        // wait for swizzle operation
v_accvgpr_write_b32 acc44, v5                      // 
v_accvgpr_read_b32 v5, acc45                       // glvw 1 mb 2 tt1 13 r 0
s_nop 1                                            // v_accvgpr read vgpr after write vgpr: 2 wait states
ds_bpermute_b32 v5, v0, v5, offset:28              // permute edge values
s_waitcnt 0                                        // wait for swizzle operation
v_accvgpr_write_b32 acc45, v5                      // 
v_accvgpr_read_b32 v5, acc46                       // glvw 1 mb 2 tt1 14 r 0
s_nop 1                                            // v_accvgpr read vgpr after write vgpr: 2 wait states
ds_bpermute_b32 v5, v0, v5, offset:28              // permute edge values
s_waitcnt 0                                        // wait for swizzle operation
v_accvgpr_write_b32 acc46, v5                      // 
v_accvgpr_read_b32 v5, acc47                       // glvw 1 mb 2 tt1 15 r 0
s_nop 1                                            // v_accvgpr read vgpr after write vgpr: 2 wait states
ds_bpermute_b32 v5, v0, v5, offset:28              // permute edge values
s_waitcnt 0                                        // wait for swizzle operation
v_accvgpr_write_b32 acc47, v5                      // 
s_mov_b64 s[32:33], 0xFFFFFFFFFFFFFFFF             // to restore all threads active
s_or_saveexec_b64 vcc, s[32:33]                    // all threads active
s_branch label_0079                                // done shifting


/******************************************/
/* shift d1 r=2 mb=0 vw0                  */
/******************************************/
label_0039: // r2 mb0 vw0 
s_mov_b32 s32, 0                                   // 
_v_cmpx_eq_u32 s[32:33], v4, s32                   // is thread in edge glvw region
v_and_b32 v0, 63, v[vgprSerial]                    // permute register between threads
v_lshlrev_b32 v0, 2, v0                            // permute register between threads
v_accvgpr_read_b32 v5, acc0                        // glvw 2 mb 0 tt1 0 r 0
s_nop 1                                            // v_accvgpr read vgpr after write vgpr: 2 wait states
ds_bpermute_b32 v5, v0, v5, offset:24              // permute edge values
s_waitcnt 0                                        // wait for swizzle operation
v_accvgpr_write_b32 acc0, v5                       // 
v_accvgpr_read_b32 v5, acc1                        // glvw 2 mb 0 tt1 1 r 0
s_nop 1                                            // v_accvgpr read vgpr after write vgpr: 2 wait states
ds_bpermute_b32 v5, v0, v5, offset:24              // permute edge values
s_waitcnt 0                                        // wait for swizzle operation
v_accvgpr_write_b32 acc1, v5                       // 
v_accvgpr_read_b32 v5, acc2                        // glvw 2 mb 0 tt1 2 r 0
s_nop 1                                            // v_accvgpr read vgpr after write vgpr: 2 wait states
ds_bpermute_b32 v5, v0, v5, offset:24              // permute edge values
s_waitcnt 0                                        // wait for swizzle operation
v_accvgpr_write_b32 acc2, v5                       // 
v_accvgpr_read_b32 v5, acc3                        // glvw 2 mb 0 tt1 3 r 0
s_nop 1                                            // v_accvgpr read vgpr after write vgpr: 2 wait states
ds_bpermute_b32 v5, v0, v5, offset:24              // permute edge values
s_waitcnt 0                                        // wait for swizzle operation
v_accvgpr_write_b32 acc3, v5                       // 
v_accvgpr_read_b32 v5, acc4                        // glvw 2 mb 0 tt1 4 r 0
s_nop 1                                            // v_accvgpr read vgpr after write vgpr: 2 wait states
ds_bpermute_b32 v5, v0, v5, offset:24              // permute edge values
s_waitcnt 0                                        // wait for swizzle operation
v_accvgpr_write_b32 acc4, v5                       // 
v_accvgpr_read_b32 v5, acc5                        // glvw 2 mb 0 tt1 5 r 0
s_nop 1                                            // v_accvgpr read vgpr after write vgpr: 2 wait states
ds_bpermute_b32 v5, v0, v5, offset:24              // permute edge values
s_waitcnt 0                                        // wait for swizzle operation
v_accvgpr_write_b32 acc5, v5                       // 
v_accvgpr_read_b32 v5, acc6                        // glvw 2 mb 0 tt1 6 r 0
s_nop 1                                            // v_accvgpr read vgpr after write vgpr: 2 wait states
ds_bpermute_b32 v5, v0, v5, offset:24              // permute edge values
s_waitcnt 0                                        // wait for swizzle operation
v_accvgpr_write_b32 acc6, v5                       // 
v_accvgpr_read_b32 v5, acc7                        // glvw 2 mb 0 tt1 7 r 0
s_nop 1                                            // v_accvgpr read vgpr after write vgpr: 2 wait states
ds_bpermute_b32 v5, v0, v5, offset:24              // permute edge values
s_waitcnt 0                                        // wait for swizzle operation
v_accvgpr_write_b32 acc7, v5                       // 
v_accvgpr_read_b32 v5, acc8                        // glvw 2 mb 0 tt1 8 r 0
s_nop 1                                            // v_accvgpr read vgpr after write vgpr: 2 wait states
ds_bpermute_b32 v5, v0, v5, offset:24              // permute edge values
s_waitcnt 0                                        // wait for swizzle operation
v_accvgpr_write_b32 acc8, v5                       // 
v_accvgpr_read_b32 v5, acc9                        // glvw 2 mb 0 tt1 9 r 0
s_nop 1                                            // v_accvgpr read vgpr after write vgpr: 2 wait states
ds_bpermute_b32 v5, v0, v5, offset:24              // permute edge values
s_waitcnt 0                                        // wait for swizzle operation
v_accvgpr_write_b32 acc9, v5                       // 
v_accvgpr_read_b32 v5, acc10                       // glvw 2 mb 0 tt1 10 r 0
s_nop 1                                            // v_accvgpr read vgpr after write vgpr: 2 wait states
ds_bpermute_b32 v5, v0, v5, offset:24              // permute edge values
s_waitcnt 0                                        // wait for swizzle operation
v_accvgpr_write_b32 acc10, v5                      // 
v_accvgpr_read_b32 v5, acc11                       // glvw 2 mb 0 tt1 11 r 0
s_nop 1                                            // v_accvgpr read vgpr after write vgpr: 2 wait states
ds_bpermute_b32 v5, v0, v5, offset:24              // permute edge values
s_waitcnt 0                                        // wait for swizzle operation
v_accvgpr_write_b32 acc11, v5                      // 
v_accvgpr_read_b32 v5, acc12                       // glvw 2 mb 0 tt1 12 r 0
s_nop 1                                            // v_accvgpr read vgpr after write vgpr: 2 wait states
ds_bpermute_b32 v5, v0, v5, offset:24              // permute edge values
s_waitcnt 0                                        // wait for swizzle operation
v_accvgpr_write_b32 acc12, v5                      // 
v_accvgpr_read_b32 v5, acc13                       // glvw 2 mb 0 tt1 13 r 0
s_nop 1                                            // v_accvgpr read vgpr after write vgpr: 2 wait states
ds_bpermute_b32 v5, v0, v5, offset:24              // permute edge values
s_waitcnt 0                                        // wait for swizzle operation
v_accvgpr_write_b32 acc13, v5                      // 
v_accvgpr_read_b32 v5, acc14                       // glvw 2 mb 0 tt1 14 r 0
s_nop 1                                            // v_accvgpr read vgpr after write vgpr: 2 wait states
ds_bpermute_b32 v5, v0, v5, offset:24              // permute edge values
s_waitcnt 0                                        // wait for swizzle operation
v_accvgpr_write_b32 acc14, v5                      // 
v_accvgpr_read_b32 v5, acc15                       // glvw 2 mb 0 tt1 15 r 0
s_nop 1                                            // v_accvgpr read vgpr after write vgpr: 2 wait states
ds_bpermute_b32 v5, v0, v5, offset:24              // permute edge values
s_waitcnt 0                                        // wait for swizzle operation
v_accvgpr_write_b32 acc15, v5                      // 
s_mov_b64 s[32:33], 0xFFFFFFFFFFFFFFFF             // to restore all threads active
s_or_saveexec_b64 vcc, s[32:33]                    // all threads active
s_branch label_0079                                // done shifting


/******************************************/
/* shift d1 r=2 mb=1 vw0                  */
/******************************************/
label_0041: // r2 mb1 vw0 
s_mov_b32 s32, 4                                   // 
_v_cmpx_eq_u32 s[32:33], v4, s32                   // is thread in edge glvw region
v_and_b32 v0, 63, v[vgprSerial]                    // permute register between threads
v_lshlrev_b32 v0, 2, v0                            // permute register between threads
v_accvgpr_read_b32 v5, acc16                       // glvw 2 mb 1 tt1 0 r 0
s_nop 1                                            // v_accvgpr read vgpr after write vgpr: 2 wait states
ds_bpermute_b32 v5, v0, v5, offset:24              // permute edge values
s_waitcnt 0                                        // wait for swizzle operation
v_accvgpr_write_b32 acc16, v5                      // 
v_accvgpr_read_b32 v5, acc17                       // glvw 2 mb 1 tt1 1 r 0
s_nop 1                                            // v_accvgpr read vgpr after write vgpr: 2 wait states
ds_bpermute_b32 v5, v0, v5, offset:24              // permute edge values
s_waitcnt 0                                        // wait for swizzle operation
v_accvgpr_write_b32 acc17, v5                      // 
v_accvgpr_read_b32 v5, acc18                       // glvw 2 mb 1 tt1 2 r 0
s_nop 1                                            // v_accvgpr read vgpr after write vgpr: 2 wait states
ds_bpermute_b32 v5, v0, v5, offset:24              // permute edge values
s_waitcnt 0                                        // wait for swizzle operation
v_accvgpr_write_b32 acc18, v5                      // 
v_accvgpr_read_b32 v5, acc19                       // glvw 2 mb 1 tt1 3 r 0
s_nop 1                                            // v_accvgpr read vgpr after write vgpr: 2 wait states
ds_bpermute_b32 v5, v0, v5, offset:24              // permute edge values
s_waitcnt 0                                        // wait for swizzle operation
v_accvgpr_write_b32 acc19, v5                      // 
v_accvgpr_read_b32 v5, acc20                       // glvw 2 mb 1 tt1 4 r 0
s_nop 1                                            // v_accvgpr read vgpr after write vgpr: 2 wait states
ds_bpermute_b32 v5, v0, v5, offset:24              // permute edge values
s_waitcnt 0                                        // wait for swizzle operation
v_accvgpr_write_b32 acc20, v5                      // 
v_accvgpr_read_b32 v5, acc21                       // glvw 2 mb 1 tt1 5 r 0
s_nop 1                                            // v_accvgpr read vgpr after write vgpr: 2 wait states
ds_bpermute_b32 v5, v0, v5, offset:24              // permute edge values
s_waitcnt 0                                        // wait for swizzle operation
v_accvgpr_write_b32 acc21, v5                      // 
v_accvgpr_read_b32 v5, acc22                       // glvw 2 mb 1 tt1 6 r 0
s_nop 1                                            // v_accvgpr read vgpr after write vgpr: 2 wait states
ds_bpermute_b32 v5, v0, v5, offset:24              // permute edge values
s_waitcnt 0                                        // wait for swizzle operation
v_accvgpr_write_b32 acc22, v5                      // 
v_accvgpr_read_b32 v5, acc23                       // glvw 2 mb 1 tt1 7 r 0
s_nop 1                                            // v_accvgpr read vgpr after write vgpr: 2 wait states
ds_bpermute_b32 v5, v0, v5, offset:24              // permute edge values
s_waitcnt 0                                        // wait for swizzle operation
v_accvgpr_write_b32 acc23, v5                      // 
v_accvgpr_read_b32 v5, acc24                       // glvw 2 mb 1 tt1 8 r 0
s_nop 1                                            // v_accvgpr read vgpr after write vgpr: 2 wait states
ds_bpermute_b32 v5, v0, v5, offset:24              // permute edge values
s_waitcnt 0                                        // wait for swizzle operation
v_accvgpr_write_b32 acc24, v5                      // 
v_accvgpr_read_b32 v5, acc25                       // glvw 2 mb 1 tt1 9 r 0
s_nop 1                                            // v_accvgpr read vgpr after write vgpr: 2 wait states
ds_bpermute_b32 v5, v0, v5, offset:24              // permute edge values
s_waitcnt 0                                        // wait for swizzle operation
v_accvgpr_write_b32 acc25, v5                      // 
v_accvgpr_read_b32 v5, acc26                       // glvw 2 mb 1 tt1 10 r 0
s_nop 1                                            // v_accvgpr read vgpr after write vgpr: 2 wait states
ds_bpermute_b32 v5, v0, v5, offset:24              // permute edge values
s_waitcnt 0                                        // wait for swizzle operation
v_accvgpr_write_b32 acc26, v5                      // 
v_accvgpr_read_b32 v5, acc27                       // glvw 2 mb 1 tt1 11 r 0
s_nop 1                                            // v_accvgpr read vgpr after write vgpr: 2 wait states
ds_bpermute_b32 v5, v0, v5, offset:24              // permute edge values
s_waitcnt 0                                        // wait for swizzle operation
v_accvgpr_write_b32 acc27, v5                      // 
v_accvgpr_read_b32 v5, acc28                       // glvw 2 mb 1 tt1 12 r 0
s_nop 1                                            // v_accvgpr read vgpr after write vgpr: 2 wait states
ds_bpermute_b32 v5, v0, v5, offset:24              // permute edge values
s_waitcnt 0                                        // wait for swizzle operation
v_accvgpr_write_b32 acc28, v5                      // 
v_accvgpr_read_b32 v5, acc29                       // glvw 2 mb 1 tt1 13 r 0
s_nop 1                                            // v_accvgpr read vgpr after write vgpr: 2 wait states
ds_bpermute_b32 v5, v0, v5, offset:24              // permute edge values
s_waitcnt 0                                        // wait for swizzle operation
v_accvgpr_write_b32 acc29, v5                      // 
v_accvgpr_read_b32 v5, acc30                       // glvw 2 mb 1 tt1 14 r 0
s_nop 1                                            // v_accvgpr read vgpr after write vgpr: 2 wait states
ds_bpermute_b32 v5, v0, v5, offset:24              // permute edge values
s_waitcnt 0                                        // wait for swizzle operation
v_accvgpr_write_b32 acc30, v5                      // 
v_accvgpr_read_b32 v5, acc31                       // glvw 2 mb 1 tt1 15 r 0
s_nop 1                                            // v_accvgpr read vgpr after write vgpr: 2 wait states
ds_bpermute_b32 v5, v0, v5, offset:24              // permute edge values
s_waitcnt 0                                        // wait for swizzle operation
v_accvgpr_write_b32 acc31, v5                      // 
s_mov_b64 s[32:33], 0xFFFFFFFFFFFFFFFF             // to restore all threads active
s_or_saveexec_b64 vcc, s[32:33]                    // all threads active
s_branch label_0079                                // done shifting


/******************************************/
/* shift d1 r=2 mb=2 vw0                  */
/******************************************/
label_0043: // r2 mb2 vw0 
s_mov_b32 s32, 8                                   // 
_v_cmpx_eq_u32 s[32:33], v4, s32                   // is thread in edge glvw region
v_and_b32 v0, 63, v[vgprSerial]                    // permute register between threads
v_lshlrev_b32 v0, 2, v0                            // permute register between threads
v_accvgpr_read_b32 v5, acc32                       // glvw 2 mb 2 tt1 0 r 0
s_nop 1                                            // v_accvgpr read vgpr after write vgpr: 2 wait states
ds_bpermute_b32 v5, v0, v5, offset:24              // permute edge values
s_waitcnt 0                                        // wait for swizzle operation
v_accvgpr_write_b32 acc32, v5                      // 
v_accvgpr_read_b32 v5, acc33                       // glvw 2 mb 2 tt1 1 r 0
s_nop 1                                            // v_accvgpr read vgpr after write vgpr: 2 wait states
ds_bpermute_b32 v5, v0, v5, offset:24              // permute edge values
s_waitcnt 0                                        // wait for swizzle operation
v_accvgpr_write_b32 acc33, v5                      // 
v_accvgpr_read_b32 v5, acc34                       // glvw 2 mb 2 tt1 2 r 0
s_nop 1                                            // v_accvgpr read vgpr after write vgpr: 2 wait states
ds_bpermute_b32 v5, v0, v5, offset:24              // permute edge values
s_waitcnt 0                                        // wait for swizzle operation
v_accvgpr_write_b32 acc34, v5                      // 
v_accvgpr_read_b32 v5, acc35                       // glvw 2 mb 2 tt1 3 r 0
s_nop 1                                            // v_accvgpr read vgpr after write vgpr: 2 wait states
ds_bpermute_b32 v5, v0, v5, offset:24              // permute edge values
s_waitcnt 0                                        // wait for swizzle operation
v_accvgpr_write_b32 acc35, v5                      // 
v_accvgpr_read_b32 v5, acc36                       // glvw 2 mb 2 tt1 4 r 0
s_nop 1                                            // v_accvgpr read vgpr after write vgpr: 2 wait states
ds_bpermute_b32 v5, v0, v5, offset:24              // permute edge values
s_waitcnt 0                                        // wait for swizzle operation
v_accvgpr_write_b32 acc36, v5                      // 
v_accvgpr_read_b32 v5, acc37                       // glvw 2 mb 2 tt1 5 r 0
s_nop 1                                            // v_accvgpr read vgpr after write vgpr: 2 wait states
ds_bpermute_b32 v5, v0, v5, offset:24              // permute edge values
s_waitcnt 0                                        // wait for swizzle operation
v_accvgpr_write_b32 acc37, v5                      // 
v_accvgpr_read_b32 v5, acc38                       // glvw 2 mb 2 tt1 6 r 0
s_nop 1                                            // v_accvgpr read vgpr after write vgpr: 2 wait states
ds_bpermute_b32 v5, v0, v5, offset:24              // permute edge values
s_waitcnt 0                                        // wait for swizzle operation
v_accvgpr_write_b32 acc38, v5                      // 
v_accvgpr_read_b32 v5, acc39                       // glvw 2 mb 2 tt1 7 r 0
s_nop 1                                            // v_accvgpr read vgpr after write vgpr: 2 wait states
ds_bpermute_b32 v5, v0, v5, offset:24              // permute edge values
s_waitcnt 0                                        // wait for swizzle operation
v_accvgpr_write_b32 acc39, v5                      // 
v_accvgpr_read_b32 v5, acc40                       // glvw 2 mb 2 tt1 8 r 0
s_nop 1                                            // v_accvgpr read vgpr after write vgpr: 2 wait states
ds_bpermute_b32 v5, v0, v5, offset:24              // permute edge values
s_waitcnt 0                                        // wait for swizzle operation
v_accvgpr_write_b32 acc40, v5                      // 
v_accvgpr_read_b32 v5, acc41                       // glvw 2 mb 2 tt1 9 r 0
s_nop 1                                            // v_accvgpr read vgpr after write vgpr: 2 wait states
ds_bpermute_b32 v5, v0, v5, offset:24              // permute edge values
s_waitcnt 0                                        // wait for swizzle operation
v_accvgpr_write_b32 acc41, v5                      // 
v_accvgpr_read_b32 v5, acc42                       // glvw 2 mb 2 tt1 10 r 0
s_nop 1                                            // v_accvgpr read vgpr after write vgpr: 2 wait states
ds_bpermute_b32 v5, v0, v5, offset:24              // permute edge values
s_waitcnt 0                                        // wait for swizzle operation
v_accvgpr_write_b32 acc42, v5                      // 
v_accvgpr_read_b32 v5, acc43                       // glvw 2 mb 2 tt1 11 r 0
s_nop 1                                            // v_accvgpr read vgpr after write vgpr: 2 wait states
ds_bpermute_b32 v5, v0, v5, offset:24              // permute edge values
s_waitcnt 0                                        // wait for swizzle operation
v_accvgpr_write_b32 acc43, v5                      // 
v_accvgpr_read_b32 v5, acc44                       // glvw 2 mb 2 tt1 12 r 0
s_nop 1                                            // v_accvgpr read vgpr after write vgpr: 2 wait states
ds_bpermute_b32 v5, v0, v5, offset:24              // permute edge values
s_waitcnt 0                                        // wait for swizzle operation
v_accvgpr_write_b32 acc44, v5                      // 
v_accvgpr_read_b32 v5, acc45                       // glvw 2 mb 2 tt1 13 r 0
s_nop 1                                            // v_accvgpr read vgpr after write vgpr: 2 wait states
ds_bpermute_b32 v5, v0, v5, offset:24              // permute edge values
s_waitcnt 0                                        // wait for swizzle operation
v_accvgpr_write_b32 acc45, v5                      // 
v_accvgpr_read_b32 v5, acc46                       // glvw 2 mb 2 tt1 14 r 0
s_nop 1                                            // v_accvgpr read vgpr after write vgpr: 2 wait states
ds_bpermute_b32 v5, v0, v5, offset:24              // permute edge values
s_waitcnt 0                                        // wait for swizzle operation
v_accvgpr_write_b32 acc46, v5                      // 
v_accvgpr_read_b32 v5, acc47                       // glvw 2 mb 2 tt1 15 r 0
s_nop 1                                            // v_accvgpr read vgpr after write vgpr: 2 wait states
ds_bpermute_b32 v5, v0, v5, offset:24              // permute edge values
s_waitcnt 0                                        // wait for swizzle operation
v_accvgpr_write_b32 acc47, v5                      // 
s_mov_b64 s[32:33], 0xFFFFFFFFFFFFFFFF             // to restore all threads active
s_or_saveexec_b64 vcc, s[32:33]                    // all threads active
s_branch label_0079                                // done shifting


/******************************************/
/* shift d1 r=3 mb=0 vw0                  */
/******************************************/
label_0046: // r3 mb0 vw0 
s_mov_b32 s32, 0                                   // 
_v_cmpx_eq_u32 s[32:33], v4, s32                   // is thread in edge glvw region
v_and_b32 v0, 63, v[vgprSerial]                    // permute register between threads
v_lshlrev_b32 v0, 2, v0                            // permute register between threads
v_accvgpr_read_b32 v5, acc0                        // glvw 3 mb 0 tt1 0 r 0
s_nop 1                                            // v_accvgpr read vgpr after write vgpr: 2 wait states
ds_bpermute_b32 v5, v0, v5, offset:20              // permute edge values
s_waitcnt 0                                        // wait for swizzle operation
v_accvgpr_write_b32 acc0, v5                       // 
v_accvgpr_read_b32 v5, acc1                        // glvw 3 mb 0 tt1 1 r 0
s_nop 1                                            // v_accvgpr read vgpr after write vgpr: 2 wait states
ds_bpermute_b32 v5, v0, v5, offset:20              // permute edge values
s_waitcnt 0                                        // wait for swizzle operation
v_accvgpr_write_b32 acc1, v5                       // 
v_accvgpr_read_b32 v5, acc2                        // glvw 3 mb 0 tt1 2 r 0
s_nop 1                                            // v_accvgpr read vgpr after write vgpr: 2 wait states
ds_bpermute_b32 v5, v0, v5, offset:20              // permute edge values
s_waitcnt 0                                        // wait for swizzle operation
v_accvgpr_write_b32 acc2, v5                       // 
v_accvgpr_read_b32 v5, acc3                        // glvw 3 mb 0 tt1 3 r 0
s_nop 1                                            // v_accvgpr read vgpr after write vgpr: 2 wait states
ds_bpermute_b32 v5, v0, v5, offset:20              // permute edge values
s_waitcnt 0                                        // wait for swizzle operation
v_accvgpr_write_b32 acc3, v5                       // 
v_accvgpr_read_b32 v5, acc4                        // glvw 3 mb 0 tt1 4 r 0
s_nop 1                                            // v_accvgpr read vgpr after write vgpr: 2 wait states
ds_bpermute_b32 v5, v0, v5, offset:20              // permute edge values
s_waitcnt 0                                        // wait for swizzle operation
v_accvgpr_write_b32 acc4, v5                       // 
v_accvgpr_read_b32 v5, acc5                        // glvw 3 mb 0 tt1 5 r 0
s_nop 1                                            // v_accvgpr read vgpr after write vgpr: 2 wait states
ds_bpermute_b32 v5, v0, v5, offset:20              // permute edge values
s_waitcnt 0                                        // wait for swizzle operation
v_accvgpr_write_b32 acc5, v5                       // 
v_accvgpr_read_b32 v5, acc6                        // glvw 3 mb 0 tt1 6 r 0
s_nop 1                                            // v_accvgpr read vgpr after write vgpr: 2 wait states
ds_bpermute_b32 v5, v0, v5, offset:20              // permute edge values
s_waitcnt 0                                        // wait for swizzle operation
v_accvgpr_write_b32 acc6, v5                       // 
v_accvgpr_read_b32 v5, acc7                        // glvw 3 mb 0 tt1 7 r 0
s_nop 1                                            // v_accvgpr read vgpr after write vgpr: 2 wait states
ds_bpermute_b32 v5, v0, v5, offset:20              // permute edge values
s_waitcnt 0                                        // wait for swizzle operation
v_accvgpr_write_b32 acc7, v5                       // 
v_accvgpr_read_b32 v5, acc8                        // glvw 3 mb 0 tt1 8 r 0
s_nop 1                                            // v_accvgpr read vgpr after write vgpr: 2 wait states
ds_bpermute_b32 v5, v0, v5, offset:20              // permute edge values
s_waitcnt 0                                        // wait for swizzle operation
v_accvgpr_write_b32 acc8, v5                       // 
v_accvgpr_read_b32 v5, acc9                        // glvw 3 mb 0 tt1 9 r 0
s_nop 1                                            // v_accvgpr read vgpr after write vgpr: 2 wait states
ds_bpermute_b32 v5, v0, v5, offset:20              // permute edge values
s_waitcnt 0                                        // wait for swizzle operation
v_accvgpr_write_b32 acc9, v5                       // 
v_accvgpr_read_b32 v5, acc10                       // glvw 3 mb 0 tt1 10 r 0
s_nop 1                                            // v_accvgpr read vgpr after write vgpr: 2 wait states
ds_bpermute_b32 v5, v0, v5, offset:20              // permute edge values
s_waitcnt 0                                        // wait for swizzle operation
v_accvgpr_write_b32 acc10, v5                      // 
v_accvgpr_read_b32 v5, acc11                       // glvw 3 mb 0 tt1 11 r 0
s_nop 1                                            // v_accvgpr read vgpr after write vgpr: 2 wait states
ds_bpermute_b32 v5, v0, v5, offset:20              // permute edge values
s_waitcnt 0                                        // wait for swizzle operation
v_accvgpr_write_b32 acc11, v5                      // 
v_accvgpr_read_b32 v5, acc12                       // glvw 3 mb 0 tt1 12 r 0
s_nop 1                                            // v_accvgpr read vgpr after write vgpr: 2 wait states
ds_bpermute_b32 v5, v0, v5, offset:20              // permute edge values
s_waitcnt 0                                        // wait for swizzle operation
v_accvgpr_write_b32 acc12, v5                      // 
v_accvgpr_read_b32 v5, acc13                       // glvw 3 mb 0 tt1 13 r 0
s_nop 1                                            // v_accvgpr read vgpr after write vgpr: 2 wait states
ds_bpermute_b32 v5, v0, v5, offset:20              // permute edge values
s_waitcnt 0                                        // wait for swizzle operation
v_accvgpr_write_b32 acc13, v5                      // 
v_accvgpr_read_b32 v5, acc14                       // glvw 3 mb 0 tt1 14 r 0
s_nop 1                                            // v_accvgpr read vgpr after write vgpr: 2 wait states
ds_bpermute_b32 v5, v0, v5, offset:20              // permute edge values
s_waitcnt 0                                        // wait for swizzle operation
v_accvgpr_write_b32 acc14, v5                      // 
v_accvgpr_read_b32 v5, acc15                       // glvw 3 mb 0 tt1 15 r 0
s_nop 1                                            // v_accvgpr read vgpr after write vgpr: 2 wait states
ds_bpermute_b32 v5, v0, v5, offset:20              // permute edge values
s_waitcnt 0                                        // wait for swizzle operation
v_accvgpr_write_b32 acc15, v5                      // 
s_mov_b64 s[32:33], 0xFFFFFFFFFFFFFFFF             // to restore all threads active
s_or_saveexec_b64 vcc, s[32:33]                    // all threads active
s_branch label_0079                                // done shifting


/******************************************/
/* shift d1 r=3 mb=1 vw0                  */
/******************************************/
label_0048: // r3 mb1 vw0 
s_mov_b32 s32, 4                                   // 
_v_cmpx_eq_u32 s[32:33], v4, s32                   // is thread in edge glvw region
v_and_b32 v0, 63, v[vgprSerial]                    // permute register between threads
v_lshlrev_b32 v0, 2, v0                            // permute register between threads
v_accvgpr_read_b32 v5, acc16                       // glvw 3 mb 1 tt1 0 r 0
s_nop 1                                            // v_accvgpr read vgpr after write vgpr: 2 wait states
ds_bpermute_b32 v5, v0, v5, offset:20              // permute edge values
s_waitcnt 0                                        // wait for swizzle operation
v_accvgpr_write_b32 acc16, v5                      // 
v_accvgpr_read_b32 v5, acc17                       // glvw 3 mb 1 tt1 1 r 0
s_nop 1                                            // v_accvgpr read vgpr after write vgpr: 2 wait states
ds_bpermute_b32 v5, v0, v5, offset:20              // permute edge values
s_waitcnt 0                                        // wait for swizzle operation
v_accvgpr_write_b32 acc17, v5                      // 
v_accvgpr_read_b32 v5, acc18                       // glvw 3 mb 1 tt1 2 r 0
s_nop 1                                            // v_accvgpr read vgpr after write vgpr: 2 wait states
ds_bpermute_b32 v5, v0, v5, offset:20              // permute edge values
s_waitcnt 0                                        // wait for swizzle operation
v_accvgpr_write_b32 acc18, v5                      // 
v_accvgpr_read_b32 v5, acc19                       // glvw 3 mb 1 tt1 3 r 0
s_nop 1                                            // v_accvgpr read vgpr after write vgpr: 2 wait states
ds_bpermute_b32 v5, v0, v5, offset:20              // permute edge values
s_waitcnt 0                                        // wait for swizzle operation
v_accvgpr_write_b32 acc19, v5                      // 
v_accvgpr_read_b32 v5, acc20                       // glvw 3 mb 1 tt1 4 r 0
s_nop 1                                            // v_accvgpr read vgpr after write vgpr: 2 wait states
ds_bpermute_b32 v5, v0, v5, offset:20              // permute edge values
s_waitcnt 0                                        // wait for swizzle operation
v_accvgpr_write_b32 acc20, v5                      // 
v_accvgpr_read_b32 v5, acc21                       // glvw 3 mb 1 tt1 5 r 0
s_nop 1                                            // v_accvgpr read vgpr after write vgpr: 2 wait states
ds_bpermute_b32 v5, v0, v5, offset:20              // permute edge values
s_waitcnt 0                                        // wait for swizzle operation
v_accvgpr_write_b32 acc21, v5                      // 
v_accvgpr_read_b32 v5, acc22                       // glvw 3 mb 1 tt1 6 r 0
s_nop 1                                            // v_accvgpr read vgpr after write vgpr: 2 wait states
ds_bpermute_b32 v5, v0, v5, offset:20              // permute edge values
s_waitcnt 0                                        // wait for swizzle operation
v_accvgpr_write_b32 acc22, v5                      // 
v_accvgpr_read_b32 v5, acc23                       // glvw 3 mb 1 tt1 7 r 0
s_nop 1                                            // v_accvgpr read vgpr after write vgpr: 2 wait states
ds_bpermute_b32 v5, v0, v5, offset:20              // permute edge values
s_waitcnt 0                                        // wait for swizzle operation
v_accvgpr_write_b32 acc23, v5                      // 
v_accvgpr_read_b32 v5, acc24                       // glvw 3 mb 1 tt1 8 r 0
s_nop 1                                            // v_accvgpr read vgpr after write vgpr: 2 wait states
ds_bpermute_b32 v5, v0, v5, offset:20              // permute edge values
s_waitcnt 0                                        // wait for swizzle operation
v_accvgpr_write_b32 acc24, v5                      // 
v_accvgpr_read_b32 v5, acc25                       // glvw 3 mb 1 tt1 9 r 0
s_nop 1                                            // v_accvgpr read vgpr after write vgpr: 2 wait states
ds_bpermute_b32 v5, v0, v5, offset:20              // permute edge values
s_waitcnt 0                                        // wait for swizzle operation
v_accvgpr_write_b32 acc25, v5                      // 
v_accvgpr_read_b32 v5, acc26                       // glvw 3 mb 1 tt1 10 r 0
s_nop 1                                            // v_accvgpr read vgpr after write vgpr: 2 wait states
ds_bpermute_b32 v5, v0, v5, offset:20              // permute edge values
s_waitcnt 0                                        // wait for swizzle operation
v_accvgpr_write_b32 acc26, v5                      // 
v_accvgpr_read_b32 v5, acc27                       // glvw 3 mb 1 tt1 11 r 0
s_nop 1                                            // v_accvgpr read vgpr after write vgpr: 2 wait states
ds_bpermute_b32 v5, v0, v5, offset:20              // permute edge values
s_waitcnt 0                                        // wait for swizzle operation
v_accvgpr_write_b32 acc27, v5                      // 
v_accvgpr_read_b32 v5, acc28                       // glvw 3 mb 1 tt1 12 r 0
s_nop 1                                            // v_accvgpr read vgpr after write vgpr: 2 wait states
ds_bpermute_b32 v5, v0, v5, offset:20              // permute edge values
s_waitcnt 0                                        // wait for swizzle operation
v_accvgpr_write_b32 acc28, v5                      // 
v_accvgpr_read_b32 v5, acc29                       // glvw 3 mb 1 tt1 13 r 0
s_nop 1                                            // v_accvgpr read vgpr after write vgpr: 2 wait states
ds_bpermute_b32 v5, v0, v5, offset:20              // permute edge values
s_waitcnt 0                                        // wait for swizzle operation
v_accvgpr_write_b32 acc29, v5                      // 
v_accvgpr_read_b32 v5, acc30                       // glvw 3 mb 1 tt1 14 r 0
s_nop 1                                            // v_accvgpr read vgpr after write vgpr: 2 wait states
ds_bpermute_b32 v5, v0, v5, offset:20              // permute edge values
s_waitcnt 0                                        // wait for swizzle operation
v_accvgpr_write_b32 acc30, v5                      // 
v_accvgpr_read_b32 v5, acc31                       // glvw 3 mb 1 tt1 15 r 0
s_nop 1                                            // v_accvgpr read vgpr after write vgpr: 2 wait states
ds_bpermute_b32 v5, v0, v5, offset:20              // permute edge values
s_waitcnt 0                                        // wait for swizzle operation
v_accvgpr_write_b32 acc31, v5                      // 
s_mov_b64 s[32:33], 0xFFFFFFFFFFFFFFFF             // to restore all threads active
s_or_saveexec_b64 vcc, s[32:33]                    // all threads active
s_branch label_0079                                // done shifting


/******************************************/
/* shift d1 r=3 mb=2 vw0                  */
/******************************************/
label_0050: // r3 mb2 vw0 
s_mov_b32 s32, 8                                   // 
_v_cmpx_eq_u32 s[32:33], v4, s32                   // is thread in edge glvw region
v_and_b32 v0, 63, v[vgprSerial]                    // permute register between threads
v_lshlrev_b32 v0, 2, v0                            // permute register between threads
v_accvgpr_read_b32 v5, acc32                       // glvw 3 mb 2 tt1 0 r 0
s_nop 1                                            // v_accvgpr read vgpr after write vgpr: 2 wait states
ds_bpermute_b32 v5, v0, v5, offset:20              // permute edge values
s_waitcnt 0                                        // wait for swizzle operation
v_accvgpr_write_b32 acc32, v5                      // 
v_accvgpr_read_b32 v5, acc33                       // glvw 3 mb 2 tt1 1 r 0
s_nop 1                                            // v_accvgpr read vgpr after write vgpr: 2 wait states
ds_bpermute_b32 v5, v0, v5, offset:20              // permute edge values
s_waitcnt 0                                        // wait for swizzle operation
v_accvgpr_write_b32 acc33, v5                      // 
v_accvgpr_read_b32 v5, acc34                       // glvw 3 mb 2 tt1 2 r 0
s_nop 1                                            // v_accvgpr read vgpr after write vgpr: 2 wait states
ds_bpermute_b32 v5, v0, v5, offset:20              // permute edge values
s_waitcnt 0                                        // wait for swizzle operation
v_accvgpr_write_b32 acc34, v5                      // 
v_accvgpr_read_b32 v5, acc35                       // glvw 3 mb 2 tt1 3 r 0
s_nop 1                                            // v_accvgpr read vgpr after write vgpr: 2 wait states
ds_bpermute_b32 v5, v0, v5, offset:20              // permute edge values
s_waitcnt 0                                        // wait for swizzle operation
v_accvgpr_write_b32 acc35, v5                      // 
v_accvgpr_read_b32 v5, acc36                       // glvw 3 mb 2 tt1 4 r 0
s_nop 1                                            // v_accvgpr read vgpr after write vgpr: 2 wait states
ds_bpermute_b32 v5, v0, v5, offset:20              // permute edge values
s_waitcnt 0                                        // wait for swizzle operation
v_accvgpr_write_b32 acc36, v5                      // 
v_accvgpr_read_b32 v5, acc37                       // glvw 3 mb 2 tt1 5 r 0
s_nop 1                                            // v_accvgpr read vgpr after write vgpr: 2 wait states
ds_bpermute_b32 v5, v0, v5, offset:20              // permute edge values
s_waitcnt 0                                        // wait for swizzle operation
v_accvgpr_write_b32 acc37, v5                      // 
v_accvgpr_read_b32 v5, acc38                       // glvw 3 mb 2 tt1 6 r 0
s_nop 1                                            // v_accvgpr read vgpr after write vgpr: 2 wait states
ds_bpermute_b32 v5, v0, v5, offset:20              // permute edge values
s_waitcnt 0                                        // wait for swizzle operation
v_accvgpr_write_b32 acc38, v5                      // 
v_accvgpr_read_b32 v5, acc39                       // glvw 3 mb 2 tt1 7 r 0
s_nop 1                                            // v_accvgpr read vgpr after write vgpr: 2 wait states
ds_bpermute_b32 v5, v0, v5, offset:20              // permute edge values
s_waitcnt 0                                        // wait for swizzle operation
v_accvgpr_write_b32 acc39, v5                      // 
v_accvgpr_read_b32 v5, acc40                       // glvw 3 mb 2 tt1 8 r 0
s_nop 1                                            // v_accvgpr read vgpr after write vgpr: 2 wait states
ds_bpermute_b32 v5, v0, v5, offset:20              // permute edge values
s_waitcnt 0                                        // wait for swizzle operation
v_accvgpr_write_b32 acc40, v5                      // 
v_accvgpr_read_b32 v5, acc41                       // glvw 3 mb 2 tt1 9 r 0
s_nop 1                                            // v_accvgpr read vgpr after write vgpr: 2 wait states
ds_bpermute_b32 v5, v0, v5, offset:20              // permute edge values
s_waitcnt 0                                        // wait for swizzle operation
v_accvgpr_write_b32 acc41, v5                      // 
v_accvgpr_read_b32 v5, acc42                       // glvw 3 mb 2 tt1 10 r 0
s_nop 1                                            // v_accvgpr read vgpr after write vgpr: 2 wait states
ds_bpermute_b32 v5, v0, v5, offset:20              // permute edge values
s_waitcnt 0                                        // wait for swizzle operation
v_accvgpr_write_b32 acc42, v5                      // 
v_accvgpr_read_b32 v5, acc43                       // glvw 3 mb 2 tt1 11 r 0
s_nop 1                                            // v_accvgpr read vgpr after write vgpr: 2 wait states
ds_bpermute_b32 v5, v0, v5, offset:20              // permute edge values
s_waitcnt 0                                        // wait for swizzle operation
v_accvgpr_write_b32 acc43, v5                      // 
v_accvgpr_read_b32 v5, acc44                       // glvw 3 mb 2 tt1 12 r 0
s_nop 1                                            // v_accvgpr read vgpr after write vgpr: 2 wait states
ds_bpermute_b32 v5, v0, v5, offset:20              // permute edge values
s_waitcnt 0                                        // wait for swizzle operation
v_accvgpr_write_b32 acc44, v5                      // 
v_accvgpr_read_b32 v5, acc45                       // glvw 3 mb 2 tt1 13 r 0
s_nop 1                                            // v_accvgpr read vgpr after write vgpr: 2 wait states
ds_bpermute_b32 v5, v0, v5, offset:20              // permute edge values
s_waitcnt 0                                        // wait for swizzle operation
v_accvgpr_write_b32 acc45, v5                      // 
v_accvgpr_read_b32 v5, acc46                       // glvw 3 mb 2 tt1 14 r 0
s_nop 1                                            // v_accvgpr read vgpr after write vgpr: 2 wait states
ds_bpermute_b32 v5, v0, v5, offset:20              // permute edge values
s_waitcnt 0                                        // wait for swizzle operation
v_accvgpr_write_b32 acc46, v5                      // 
v_accvgpr_read_b32 v5, acc47                       // glvw 3 mb 2 tt1 15 r 0
s_nop 1                                            // v_accvgpr read vgpr after write vgpr: 2 wait states
ds_bpermute_b32 v5, v0, v5, offset:20              // permute edge values
s_waitcnt 0                                        // wait for swizzle operation
v_accvgpr_write_b32 acc47, v5                      // 
s_mov_b64 s[32:33], 0xFFFFFFFFFFFFFFFF             // to restore all threads active
s_or_saveexec_b64 vcc, s[32:33]                    // all threads active
s_branch label_0079                                // done shifting


/******************************************/
/* shift d1 r=4 mb=0 vw0                  */
/******************************************/
label_0053: // r4 mb0 vw0 
s_mov_b32 s32, 0                                   // 
_v_cmpx_eq_u32 s[32:33], v4, s32                   // is thread in edge glvw region
v_and_b32 v0, 63, v[vgprSerial]                    // permute register between threads
v_lshlrev_b32 v0, 2, v0                            // permute register between threads
v_accvgpr_read_b32 v5, acc0                        // glvw 4 mb 0 tt1 0 r 0
s_nop 1                                            // v_accvgpr read vgpr after write vgpr: 2 wait states
ds_bpermute_b32 v5, v0, v5, offset:16              // permute edge values
s_waitcnt 0                                        // wait for swizzle operation
v_accvgpr_write_b32 acc0, v5                       // 
v_accvgpr_read_b32 v5, acc1                        // glvw 4 mb 0 tt1 1 r 0
s_nop 1                                            // v_accvgpr read vgpr after write vgpr: 2 wait states
ds_bpermute_b32 v5, v0, v5, offset:16              // permute edge values
s_waitcnt 0                                        // wait for swizzle operation
v_accvgpr_write_b32 acc1, v5                       // 
v_accvgpr_read_b32 v5, acc2                        // glvw 4 mb 0 tt1 2 r 0
s_nop 1                                            // v_accvgpr read vgpr after write vgpr: 2 wait states
ds_bpermute_b32 v5, v0, v5, offset:16              // permute edge values
s_waitcnt 0                                        // wait for swizzle operation
v_accvgpr_write_b32 acc2, v5                       // 
v_accvgpr_read_b32 v5, acc3                        // glvw 4 mb 0 tt1 3 r 0
s_nop 1                                            // v_accvgpr read vgpr after write vgpr: 2 wait states
ds_bpermute_b32 v5, v0, v5, offset:16              // permute edge values
s_waitcnt 0                                        // wait for swizzle operation
v_accvgpr_write_b32 acc3, v5                       // 
v_accvgpr_read_b32 v5, acc4                        // glvw 4 mb 0 tt1 4 r 0
s_nop 1                                            // v_accvgpr read vgpr after write vgpr: 2 wait states
ds_bpermute_b32 v5, v0, v5, offset:16              // permute edge values
s_waitcnt 0                                        // wait for swizzle operation
v_accvgpr_write_b32 acc4, v5                       // 
v_accvgpr_read_b32 v5, acc5                        // glvw 4 mb 0 tt1 5 r 0
s_nop 1                                            // v_accvgpr read vgpr after write vgpr: 2 wait states
ds_bpermute_b32 v5, v0, v5, offset:16              // permute edge values
s_waitcnt 0                                        // wait for swizzle operation
v_accvgpr_write_b32 acc5, v5                       // 
v_accvgpr_read_b32 v5, acc6                        // glvw 4 mb 0 tt1 6 r 0
s_nop 1                                            // v_accvgpr read vgpr after write vgpr: 2 wait states
ds_bpermute_b32 v5, v0, v5, offset:16              // permute edge values
s_waitcnt 0                                        // wait for swizzle operation
v_accvgpr_write_b32 acc6, v5                       // 
v_accvgpr_read_b32 v5, acc7                        // glvw 4 mb 0 tt1 7 r 0
s_nop 1                                            // v_accvgpr read vgpr after write vgpr: 2 wait states
ds_bpermute_b32 v5, v0, v5, offset:16              // permute edge values
s_waitcnt 0                                        // wait for swizzle operation
v_accvgpr_write_b32 acc7, v5                       // 
v_accvgpr_read_b32 v5, acc8                        // glvw 4 mb 0 tt1 8 r 0
s_nop 1                                            // v_accvgpr read vgpr after write vgpr: 2 wait states
ds_bpermute_b32 v5, v0, v5, offset:16              // permute edge values
s_waitcnt 0                                        // wait for swizzle operation
v_accvgpr_write_b32 acc8, v5                       // 
v_accvgpr_read_b32 v5, acc9                        // glvw 4 mb 0 tt1 9 r 0
s_nop 1                                            // v_accvgpr read vgpr after write vgpr: 2 wait states
ds_bpermute_b32 v5, v0, v5, offset:16              // permute edge values
s_waitcnt 0                                        // wait for swizzle operation
v_accvgpr_write_b32 acc9, v5                       // 
v_accvgpr_read_b32 v5, acc10                       // glvw 4 mb 0 tt1 10 r 0
s_nop 1                                            // v_accvgpr read vgpr after write vgpr: 2 wait states
ds_bpermute_b32 v5, v0, v5, offset:16              // permute edge values
s_waitcnt 0                                        // wait for swizzle operation
v_accvgpr_write_b32 acc10, v5                      // 
v_accvgpr_read_b32 v5, acc11                       // glvw 4 mb 0 tt1 11 r 0
s_nop 1                                            // v_accvgpr read vgpr after write vgpr: 2 wait states
ds_bpermute_b32 v5, v0, v5, offset:16              // permute edge values
s_waitcnt 0                                        // wait for swizzle operation
v_accvgpr_write_b32 acc11, v5                      // 
v_accvgpr_read_b32 v5, acc12                       // glvw 4 mb 0 tt1 12 r 0
s_nop 1                                            // v_accvgpr read vgpr after write vgpr: 2 wait states
ds_bpermute_b32 v5, v0, v5, offset:16              // permute edge values
s_waitcnt 0                                        // wait for swizzle operation
v_accvgpr_write_b32 acc12, v5                      // 
v_accvgpr_read_b32 v5, acc13                       // glvw 4 mb 0 tt1 13 r 0
s_nop 1                                            // v_accvgpr read vgpr after write vgpr: 2 wait states
ds_bpermute_b32 v5, v0, v5, offset:16              // permute edge values
s_waitcnt 0                                        // wait for swizzle operation
v_accvgpr_write_b32 acc13, v5                      // 
v_accvgpr_read_b32 v5, acc14                       // glvw 4 mb 0 tt1 14 r 0
s_nop 1                                            // v_accvgpr read vgpr after write vgpr: 2 wait states
ds_bpermute_b32 v5, v0, v5, offset:16              // permute edge values
s_waitcnt 0                                        // wait for swizzle operation
v_accvgpr_write_b32 acc14, v5                      // 
v_accvgpr_read_b32 v5, acc15                       // glvw 4 mb 0 tt1 15 r 0
s_nop 1                                            // v_accvgpr read vgpr after write vgpr: 2 wait states
ds_bpermute_b32 v5, v0, v5, offset:16              // permute edge values
s_waitcnt 0                                        // wait for swizzle operation
v_accvgpr_write_b32 acc15, v5                      // 
s_mov_b64 s[32:33], 0xFFFFFFFFFFFFFFFF             // to restore all threads active
s_or_saveexec_b64 vcc, s[32:33]                    // all threads active
s_branch label_0079                                // done shifting


/******************************************/
/* shift d1 r=4 mb=1 vw0                  */
/******************************************/
label_0055: // r4 mb1 vw0 
s_mov_b32 s32, 4                                   // 
_v_cmpx_eq_u32 s[32:33], v4, s32                   // is thread in edge glvw region
v_and_b32 v0, 63, v[vgprSerial]                    // permute register between threads
v_lshlrev_b32 v0, 2, v0                            // permute register between threads
v_accvgpr_read_b32 v5, acc16                       // glvw 4 mb 1 tt1 0 r 0
s_nop 1                                            // v_accvgpr read vgpr after write vgpr: 2 wait states
ds_bpermute_b32 v5, v0, v5, offset:16              // permute edge values
s_waitcnt 0                                        // wait for swizzle operation
v_accvgpr_write_b32 acc16, v5                      // 
v_accvgpr_read_b32 v5, acc17                       // glvw 4 mb 1 tt1 1 r 0
s_nop 1                                            // v_accvgpr read vgpr after write vgpr: 2 wait states
ds_bpermute_b32 v5, v0, v5, offset:16              // permute edge values
s_waitcnt 0                                        // wait for swizzle operation
v_accvgpr_write_b32 acc17, v5                      // 
v_accvgpr_read_b32 v5, acc18                       // glvw 4 mb 1 tt1 2 r 0
s_nop 1                                            // v_accvgpr read vgpr after write vgpr: 2 wait states
ds_bpermute_b32 v5, v0, v5, offset:16              // permute edge values
s_waitcnt 0                                        // wait for swizzle operation
v_accvgpr_write_b32 acc18, v5                      // 
v_accvgpr_read_b32 v5, acc19                       // glvw 4 mb 1 tt1 3 r 0
s_nop 1                                            // v_accvgpr read vgpr after write vgpr: 2 wait states
ds_bpermute_b32 v5, v0, v5, offset:16              // permute edge values
s_waitcnt 0                                        // wait for swizzle operation
v_accvgpr_write_b32 acc19, v5                      // 
v_accvgpr_read_b32 v5, acc20                       // glvw 4 mb 1 tt1 4 r 0
s_nop 1                                            // v_accvgpr read vgpr after write vgpr: 2 wait states
ds_bpermute_b32 v5, v0, v5, offset:16              // permute edge values
s_waitcnt 0                                        // wait for swizzle operation
v_accvgpr_write_b32 acc20, v5                      // 
v_accvgpr_read_b32 v5, acc21                       // glvw 4 mb 1 tt1 5 r 0
s_nop 1                                            // v_accvgpr read vgpr after write vgpr: 2 wait states
ds_bpermute_b32 v5, v0, v5, offset:16              // permute edge values
s_waitcnt 0                                        // wait for swizzle operation
v_accvgpr_write_b32 acc21, v5                      // 
v_accvgpr_read_b32 v5, acc22                       // glvw 4 mb 1 tt1 6 r 0
s_nop 1                                            // v_accvgpr read vgpr after write vgpr: 2 wait states
ds_bpermute_b32 v5, v0, v5, offset:16              // permute edge values
s_waitcnt 0                                        // wait for swizzle operation
v_accvgpr_write_b32 acc22, v5                      // 
v_accvgpr_read_b32 v5, acc23                       // glvw 4 mb 1 tt1 7 r 0
s_nop 1                                            // v_accvgpr read vgpr after write vgpr: 2 wait states
ds_bpermute_b32 v5, v0, v5, offset:16              // permute edge values
s_waitcnt 0                                        // wait for swizzle operation
v_accvgpr_write_b32 acc23, v5                      // 
v_accvgpr_read_b32 v5, acc24                       // glvw 4 mb 1 tt1 8 r 0
s_nop 1                                            // v_accvgpr read vgpr after write vgpr: 2 wait states
ds_bpermute_b32 v5, v0, v5, offset:16              // permute edge values
s_waitcnt 0                                        // wait for swizzle operation
v_accvgpr_write_b32 acc24, v5                      // 
v_accvgpr_read_b32 v5, acc25                       // glvw 4 mb 1 tt1 9 r 0
s_nop 1                                            // v_accvgpr read vgpr after write vgpr: 2 wait states
ds_bpermute_b32 v5, v0, v5, offset:16              // permute edge values
s_waitcnt 0                                        // wait for swizzle operation
v_accvgpr_write_b32 acc25, v5                      // 
v_accvgpr_read_b32 v5, acc26                       // glvw 4 mb 1 tt1 10 r 0
s_nop 1                                            // v_accvgpr read vgpr after write vgpr: 2 wait states
ds_bpermute_b32 v5, v0, v5, offset:16              // permute edge values
s_waitcnt 0                                        // wait for swizzle operation
v_accvgpr_write_b32 acc26, v5                      // 
v_accvgpr_read_b32 v5, acc27                       // glvw 4 mb 1 tt1 11 r 0
s_nop 1                                            // v_accvgpr read vgpr after write vgpr: 2 wait states
ds_bpermute_b32 v5, v0, v5, offset:16              // permute edge values
s_waitcnt 0                                        // wait for swizzle operation
v_accvgpr_write_b32 acc27, v5                      // 
v_accvgpr_read_b32 v5, acc28                       // glvw 4 mb 1 tt1 12 r 0
s_nop 1                                            // v_accvgpr read vgpr after write vgpr: 2 wait states
ds_bpermute_b32 v5, v0, v5, offset:16              // permute edge values
s_waitcnt 0                                        // wait for swizzle operation
v_accvgpr_write_b32 acc28, v5                      // 
v_accvgpr_read_b32 v5, acc29                       // glvw 4 mb 1 tt1 13 r 0
s_nop 1                                            // v_accvgpr read vgpr after write vgpr: 2 wait states
ds_bpermute_b32 v5, v0, v5, offset:16              // permute edge values
s_waitcnt 0                                        // wait for swizzle operation
v_accvgpr_write_b32 acc29, v5                      // 
v_accvgpr_read_b32 v5, acc30                       // glvw 4 mb 1 tt1 14 r 0
s_nop 1                                            // v_accvgpr read vgpr after write vgpr: 2 wait states
ds_bpermute_b32 v5, v0, v5, offset:16              // permute edge values
s_waitcnt 0                                        // wait for swizzle operation
v_accvgpr_write_b32 acc30, v5                      // 
v_accvgpr_read_b32 v5, acc31                       // glvw 4 mb 1 tt1 15 r 0
s_nop 1                                            // v_accvgpr read vgpr after write vgpr: 2 wait states
ds_bpermute_b32 v5, v0, v5, offset:16              // permute edge values
s_waitcnt 0                                        // wait for swizzle operation
v_accvgpr_write_b32 acc31, v5                      // 
s_mov_b64 s[32:33], 0xFFFFFFFFFFFFFFFF             // to restore all threads active
s_or_saveexec_b64 vcc, s[32:33]                    // all threads active
s_branch label_0079                                // done shifting


/******************************************/
/* shift d1 r=4 mb=2 vw0                  */
/******************************************/
label_0057: // r4 mb2 vw0 
s_mov_b32 s32, 8                                   // 
_v_cmpx_eq_u32 s[32:33], v4, s32                   // is thread in edge glvw region
v_and_b32 v0, 63, v[vgprSerial]                    // permute register between threads
v_lshlrev_b32 v0, 2, v0                            // permute register between threads
v_accvgpr_read_b32 v5, acc32                       // glvw 4 mb 2 tt1 0 r 0
s_nop 1                                            // v_accvgpr read vgpr after write vgpr: 2 wait states
ds_bpermute_b32 v5, v0, v5, offset:16              // permute edge values
s_waitcnt 0                                        // wait for swizzle operation
v_accvgpr_write_b32 acc32, v5                      // 
v_accvgpr_read_b32 v5, acc33                       // glvw 4 mb 2 tt1 1 r 0
s_nop 1                                            // v_accvgpr read vgpr after write vgpr: 2 wait states
ds_bpermute_b32 v5, v0, v5, offset:16              // permute edge values
s_waitcnt 0                                        // wait for swizzle operation
v_accvgpr_write_b32 acc33, v5                      // 
v_accvgpr_read_b32 v5, acc34                       // glvw 4 mb 2 tt1 2 r 0
s_nop 1                                            // v_accvgpr read vgpr after write vgpr: 2 wait states
ds_bpermute_b32 v5, v0, v5, offset:16              // permute edge values
s_waitcnt 0                                        // wait for swizzle operation
v_accvgpr_write_b32 acc34, v5                      // 
v_accvgpr_read_b32 v5, acc35                       // glvw 4 mb 2 tt1 3 r 0
s_nop 1                                            // v_accvgpr read vgpr after write vgpr: 2 wait states
ds_bpermute_b32 v5, v0, v5, offset:16              // permute edge values
s_waitcnt 0                                        // wait for swizzle operation
v_accvgpr_write_b32 acc35, v5                      // 
v_accvgpr_read_b32 v5, acc36                       // glvw 4 mb 2 tt1 4 r 0
s_nop 1                                            // v_accvgpr read vgpr after write vgpr: 2 wait states
ds_bpermute_b32 v5, v0, v5, offset:16              // permute edge values
s_waitcnt 0                                        // wait for swizzle operation
v_accvgpr_write_b32 acc36, v5                      // 
v_accvgpr_read_b32 v5, acc37                       // glvw 4 mb 2 tt1 5 r 0
s_nop 1                                            // v_accvgpr read vgpr after write vgpr: 2 wait states
ds_bpermute_b32 v5, v0, v5, offset:16              // permute edge values
s_waitcnt 0                                        // wait for swizzle operation
v_accvgpr_write_b32 acc37, v5                      // 
v_accvgpr_read_b32 v5, acc38                       // glvw 4 mb 2 tt1 6 r 0
s_nop 1                                            // v_accvgpr read vgpr after write vgpr: 2 wait states
ds_bpermute_b32 v5, v0, v5, offset:16              // permute edge values
s_waitcnt 0                                        // wait for swizzle operation
v_accvgpr_write_b32 acc38, v5                      // 
v_accvgpr_read_b32 v5, acc39                       // glvw 4 mb 2 tt1 7 r 0
s_nop 1                                            // v_accvgpr read vgpr after write vgpr: 2 wait states
ds_bpermute_b32 v5, v0, v5, offset:16              // permute edge values
s_waitcnt 0                                        // wait for swizzle operation
v_accvgpr_write_b32 acc39, v5                      // 
v_accvgpr_read_b32 v5, acc40                       // glvw 4 mb 2 tt1 8 r 0
s_nop 1                                            // v_accvgpr read vgpr after write vgpr: 2 wait states
ds_bpermute_b32 v5, v0, v5, offset:16              // permute edge values
s_waitcnt 0                                        // wait for swizzle operation
v_accvgpr_write_b32 acc40, v5                      // 
v_accvgpr_read_b32 v5, acc41                       // glvw 4 mb 2 tt1 9 r 0
s_nop 1                                            // v_accvgpr read vgpr after write vgpr: 2 wait states
ds_bpermute_b32 v5, v0, v5, offset:16              // permute edge values
s_waitcnt 0                                        // wait for swizzle operation
v_accvgpr_write_b32 acc41, v5                      // 
v_accvgpr_read_b32 v5, acc42                       // glvw 4 mb 2 tt1 10 r 0
s_nop 1                                            // v_accvgpr read vgpr after write vgpr: 2 wait states
ds_bpermute_b32 v5, v0, v5, offset:16              // permute edge values
s_waitcnt 0                                        // wait for swizzle operation
v_accvgpr_write_b32 acc42, v5                      // 
v_accvgpr_read_b32 v5, acc43                       // glvw 4 mb 2 tt1 11 r 0
s_nop 1                                            // v_accvgpr read vgpr after write vgpr: 2 wait states
ds_bpermute_b32 v5, v0, v5, offset:16              // permute edge values
s_waitcnt 0                                        // wait for swizzle operation
v_accvgpr_write_b32 acc43, v5                      // 
v_accvgpr_read_b32 v5, acc44                       // glvw 4 mb 2 tt1 12 r 0
s_nop 1                                            // v_accvgpr read vgpr after write vgpr: 2 wait states
ds_bpermute_b32 v5, v0, v5, offset:16              // permute edge values
s_waitcnt 0                                        // wait for swizzle operation
v_accvgpr_write_b32 acc44, v5                      // 
v_accvgpr_read_b32 v5, acc45                       // glvw 4 mb 2 tt1 13 r 0
s_nop 1                                            // v_accvgpr read vgpr after write vgpr: 2 wait states
ds_bpermute_b32 v5, v0, v5, offset:16              // permute edge values
s_waitcnt 0                                        // wait for swizzle operation
v_accvgpr_write_b32 acc45, v5                      // 
v_accvgpr_read_b32 v5, acc46                       // glvw 4 mb 2 tt1 14 r 0
s_nop 1                                            // v_accvgpr read vgpr after write vgpr: 2 wait states
ds_bpermute_b32 v5, v0, v5, offset:16              // permute edge values
s_waitcnt 0                                        // wait for swizzle operation
v_accvgpr_write_b32 acc46, v5                      // 
v_accvgpr_read_b32 v5, acc47                       // glvw 4 mb 2 tt1 15 r 0
s_nop 1                                            // v_accvgpr read vgpr after write vgpr: 2 wait states
ds_bpermute_b32 v5, v0, v5, offset:16              // permute edge values
s_waitcnt 0                                        // wait for swizzle operation
v_accvgpr_write_b32 acc47, v5                      // 
s_mov_b64 s[32:33], 0xFFFFFFFFFFFFFFFF             // to restore all threads active
s_or_saveexec_b64 vcc, s[32:33]                    // all threads active
s_branch label_0079                                // done shifting


/******************************************/
/* shift d1 r=5 mb=0 vw0                  */
/******************************************/
label_0060: // r5 mb0 vw0 
s_mov_b32 s32, 0                                   // 
_v_cmpx_eq_u32 s[32:33], v4, s32                   // is thread in edge glvw region
v_and_b32 v0, 63, v[vgprSerial]                    // permute register between threads
v_lshlrev_b32 v0, 2, v0                            // permute register between threads
v_accvgpr_read_b32 v5, acc0                        // glvw 5 mb 0 tt1 0 r 0
s_nop 1                                            // v_accvgpr read vgpr after write vgpr: 2 wait states
ds_bpermute_b32 v5, v0, v5, offset:12              // permute edge values
s_waitcnt 0                                        // wait for swizzle operation
v_accvgpr_write_b32 acc0, v5                       // 
v_accvgpr_read_b32 v5, acc1                        // glvw 5 mb 0 tt1 1 r 0
s_nop 1                                            // v_accvgpr read vgpr after write vgpr: 2 wait states
ds_bpermute_b32 v5, v0, v5, offset:12              // permute edge values
s_waitcnt 0                                        // wait for swizzle operation
v_accvgpr_write_b32 acc1, v5                       // 
v_accvgpr_read_b32 v5, acc2                        // glvw 5 mb 0 tt1 2 r 0
s_nop 1                                            // v_accvgpr read vgpr after write vgpr: 2 wait states
ds_bpermute_b32 v5, v0, v5, offset:12              // permute edge values
s_waitcnt 0                                        // wait for swizzle operation
v_accvgpr_write_b32 acc2, v5                       // 
v_accvgpr_read_b32 v5, acc3                        // glvw 5 mb 0 tt1 3 r 0
s_nop 1                                            // v_accvgpr read vgpr after write vgpr: 2 wait states
ds_bpermute_b32 v5, v0, v5, offset:12              // permute edge values
s_waitcnt 0                                        // wait for swizzle operation
v_accvgpr_write_b32 acc3, v5                       // 
v_accvgpr_read_b32 v5, acc4                        // glvw 5 mb 0 tt1 4 r 0
s_nop 1                                            // v_accvgpr read vgpr after write vgpr: 2 wait states
ds_bpermute_b32 v5, v0, v5, offset:12              // permute edge values
s_waitcnt 0                                        // wait for swizzle operation
v_accvgpr_write_b32 acc4, v5                       // 
v_accvgpr_read_b32 v5, acc5                        // glvw 5 mb 0 tt1 5 r 0
s_nop 1                                            // v_accvgpr read vgpr after write vgpr: 2 wait states
ds_bpermute_b32 v5, v0, v5, offset:12              // permute edge values
s_waitcnt 0                                        // wait for swizzle operation
v_accvgpr_write_b32 acc5, v5                       // 
v_accvgpr_read_b32 v5, acc6                        // glvw 5 mb 0 tt1 6 r 0
s_nop 1                                            // v_accvgpr read vgpr after write vgpr: 2 wait states
ds_bpermute_b32 v5, v0, v5, offset:12              // permute edge values
s_waitcnt 0                                        // wait for swizzle operation
v_accvgpr_write_b32 acc6, v5                       // 
v_accvgpr_read_b32 v5, acc7                        // glvw 5 mb 0 tt1 7 r 0
s_nop 1                                            // v_accvgpr read vgpr after write vgpr: 2 wait states
ds_bpermute_b32 v5, v0, v5, offset:12              // permute edge values
s_waitcnt 0                                        // wait for swizzle operation
v_accvgpr_write_b32 acc7, v5                       // 
v_accvgpr_read_b32 v5, acc8                        // glvw 5 mb 0 tt1 8 r 0
s_nop 1                                            // v_accvgpr read vgpr after write vgpr: 2 wait states
ds_bpermute_b32 v5, v0, v5, offset:12              // permute edge values
s_waitcnt 0                                        // wait for swizzle operation
v_accvgpr_write_b32 acc8, v5                       // 
v_accvgpr_read_b32 v5, acc9                        // glvw 5 mb 0 tt1 9 r 0
s_nop 1                                            // v_accvgpr read vgpr after write vgpr: 2 wait states
ds_bpermute_b32 v5, v0, v5, offset:12              // permute edge values
s_waitcnt 0                                        // wait for swizzle operation
v_accvgpr_write_b32 acc9, v5                       // 
v_accvgpr_read_b32 v5, acc10                       // glvw 5 mb 0 tt1 10 r 0
s_nop 1                                            // v_accvgpr read vgpr after write vgpr: 2 wait states
ds_bpermute_b32 v5, v0, v5, offset:12              // permute edge values
s_waitcnt 0                                        // wait for swizzle operation
v_accvgpr_write_b32 acc10, v5                      // 
v_accvgpr_read_b32 v5, acc11                       // glvw 5 mb 0 tt1 11 r 0
s_nop 1                                            // v_accvgpr read vgpr after write vgpr: 2 wait states
ds_bpermute_b32 v5, v0, v5, offset:12              // permute edge values
s_waitcnt 0                                        // wait for swizzle operation
v_accvgpr_write_b32 acc11, v5                      // 
v_accvgpr_read_b32 v5, acc12                       // glvw 5 mb 0 tt1 12 r 0
s_nop 1                                            // v_accvgpr read vgpr after write vgpr: 2 wait states
ds_bpermute_b32 v5, v0, v5, offset:12              // permute edge values
s_waitcnt 0                                        // wait for swizzle operation
v_accvgpr_write_b32 acc12, v5                      // 
v_accvgpr_read_b32 v5, acc13                       // glvw 5 mb 0 tt1 13 r 0
s_nop 1                                            // v_accvgpr read vgpr after write vgpr: 2 wait states
ds_bpermute_b32 v5, v0, v5, offset:12              // permute edge values
s_waitcnt 0                                        // wait for swizzle operation
v_accvgpr_write_b32 acc13, v5                      // 
v_accvgpr_read_b32 v5, acc14                       // glvw 5 mb 0 tt1 14 r 0
s_nop 1                                            // v_accvgpr read vgpr after write vgpr: 2 wait states
ds_bpermute_b32 v5, v0, v5, offset:12              // permute edge values
s_waitcnt 0                                        // wait for swizzle operation
v_accvgpr_write_b32 acc14, v5                      // 
v_accvgpr_read_b32 v5, acc15                       // glvw 5 mb 0 tt1 15 r 0
s_nop 1                                            // v_accvgpr read vgpr after write vgpr: 2 wait states
ds_bpermute_b32 v5, v0, v5, offset:12              // permute edge values
s_waitcnt 0                                        // wait for swizzle operation
v_accvgpr_write_b32 acc15, v5                      // 
s_mov_b64 s[32:33], 0xFFFFFFFFFFFFFFFF             // to restore all threads active
s_or_saveexec_b64 vcc, s[32:33]                    // all threads active
s_branch label_0079                                // done shifting


/******************************************/
/* shift d1 r=5 mb=1 vw0                  */
/******************************************/
label_0062: // r5 mb1 vw0 
s_mov_b32 s32, 4                                   // 
_v_cmpx_eq_u32 s[32:33], v4, s32                   // is thread in edge glvw region
v_and_b32 v0, 63, v[vgprSerial]                    // permute register between threads
v_lshlrev_b32 v0, 2, v0                            // permute register between threads
v_accvgpr_read_b32 v5, acc16                       // glvw 5 mb 1 tt1 0 r 0
s_nop 1                                            // v_accvgpr read vgpr after write vgpr: 2 wait states
ds_bpermute_b32 v5, v0, v5, offset:12              // permute edge values
s_waitcnt 0                                        // wait for swizzle operation
v_accvgpr_write_b32 acc16, v5                      // 
v_accvgpr_read_b32 v5, acc17                       // glvw 5 mb 1 tt1 1 r 0
s_nop 1                                            // v_accvgpr read vgpr after write vgpr: 2 wait states
ds_bpermute_b32 v5, v0, v5, offset:12              // permute edge values
s_waitcnt 0                                        // wait for swizzle operation
v_accvgpr_write_b32 acc17, v5                      // 
v_accvgpr_read_b32 v5, acc18                       // glvw 5 mb 1 tt1 2 r 0
s_nop 1                                            // v_accvgpr read vgpr after write vgpr: 2 wait states
ds_bpermute_b32 v5, v0, v5, offset:12              // permute edge values
s_waitcnt 0                                        // wait for swizzle operation
v_accvgpr_write_b32 acc18, v5                      // 
v_accvgpr_read_b32 v5, acc19                       // glvw 5 mb 1 tt1 3 r 0
s_nop 1                                            // v_accvgpr read vgpr after write vgpr: 2 wait states
ds_bpermute_b32 v5, v0, v5, offset:12              // permute edge values
s_waitcnt 0                                        // wait for swizzle operation
v_accvgpr_write_b32 acc19, v5                      // 
v_accvgpr_read_b32 v5, acc20                       // glvw 5 mb 1 tt1 4 r 0
s_nop 1                                            // v_accvgpr read vgpr after write vgpr: 2 wait states
ds_bpermute_b32 v5, v0, v5, offset:12              // permute edge values
s_waitcnt 0                                        // wait for swizzle operation
v_accvgpr_write_b32 acc20, v5                      // 
v_accvgpr_read_b32 v5, acc21                       // glvw 5 mb 1 tt1 5 r 0
s_nop 1                                            // v_accvgpr read vgpr after write vgpr: 2 wait states
ds_bpermute_b32 v5, v0, v5, offset:12              // permute edge values
s_waitcnt 0                                        // wait for swizzle operation
v_accvgpr_write_b32 acc21, v5                      // 
v_accvgpr_read_b32 v5, acc22                       // glvw 5 mb 1 tt1 6 r 0
s_nop 1                                            // v_accvgpr read vgpr after write vgpr: 2 wait states
ds_bpermute_b32 v5, v0, v5, offset:12              // permute edge values
s_waitcnt 0                                        // wait for swizzle operation
v_accvgpr_write_b32 acc22, v5                      // 
v_accvgpr_read_b32 v5, acc23                       // glvw 5 mb 1 tt1 7 r 0
s_nop 1                                            // v_accvgpr read vgpr after write vgpr: 2 wait states
ds_bpermute_b32 v5, v0, v5, offset:12              // permute edge values
s_waitcnt 0                                        // wait for swizzle operation
v_accvgpr_write_b32 acc23, v5                      // 
v_accvgpr_read_b32 v5, acc24                       // glvw 5 mb 1 tt1 8 r 0
s_nop 1                                            // v_accvgpr read vgpr after write vgpr: 2 wait states
ds_bpermute_b32 v5, v0, v5, offset:12              // permute edge values
s_waitcnt 0                                        // wait for swizzle operation
v_accvgpr_write_b32 acc24, v5                      // 
v_accvgpr_read_b32 v5, acc25                       // glvw 5 mb 1 tt1 9 r 0
s_nop 1                                            // v_accvgpr read vgpr after write vgpr: 2 wait states
ds_bpermute_b32 v5, v0, v5, offset:12              // permute edge values
s_waitcnt 0                                        // wait for swizzle operation
v_accvgpr_write_b32 acc25, v5                      // 
v_accvgpr_read_b32 v5, acc26                       // glvw 5 mb 1 tt1 10 r 0
s_nop 1                                            // v_accvgpr read vgpr after write vgpr: 2 wait states
ds_bpermute_b32 v5, v0, v5, offset:12              // permute edge values
s_waitcnt 0                                        // wait for swizzle operation
v_accvgpr_write_b32 acc26, v5                      // 
v_accvgpr_read_b32 v5, acc27                       // glvw 5 mb 1 tt1 11 r 0
s_nop 1                                            // v_accvgpr read vgpr after write vgpr: 2 wait states
ds_bpermute_b32 v5, v0, v5, offset:12              // permute edge values
s_waitcnt 0                                        // wait for swizzle operation
v_accvgpr_write_b32 acc27, v5                      // 
v_accvgpr_read_b32 v5, acc28                       // glvw 5 mb 1 tt1 12 r 0
s_nop 1                                            // v_accvgpr read vgpr after write vgpr: 2 wait states
ds_bpermute_b32 v5, v0, v5, offset:12              // permute edge values
s_waitcnt 0                                        // wait for swizzle operation
v_accvgpr_write_b32 acc28, v5                      // 
v_accvgpr_read_b32 v5, acc29                       // glvw 5 mb 1 tt1 13 r 0
s_nop 1                                            // v_accvgpr read vgpr after write vgpr: 2 wait states
ds_bpermute_b32 v5, v0, v5, offset:12              // permute edge values
s_waitcnt 0                                        // wait for swizzle operation
v_accvgpr_write_b32 acc29, v5                      // 
v_accvgpr_read_b32 v5, acc30                       // glvw 5 mb 1 tt1 14 r 0
s_nop 1                                            // v_accvgpr read vgpr after write vgpr: 2 wait states
ds_bpermute_b32 v5, v0, v5, offset:12              // permute edge values
s_waitcnt 0                                        // wait for swizzle operation
v_accvgpr_write_b32 acc30, v5                      // 
v_accvgpr_read_b32 v5, acc31                       // glvw 5 mb 1 tt1 15 r 0
s_nop 1                                            // v_accvgpr read vgpr after write vgpr: 2 wait states
ds_bpermute_b32 v5, v0, v5, offset:12              // permute edge values
s_waitcnt 0                                        // wait for swizzle operation
v_accvgpr_write_b32 acc31, v5                      // 
s_mov_b64 s[32:33], 0xFFFFFFFFFFFFFFFF             // to restore all threads active
s_or_saveexec_b64 vcc, s[32:33]                    // all threads active
s_branch label_0079                                // done shifting


/******************************************/
/* shift d1 r=5 mb=2 vw0                  */
/******************************************/
label_0064: // r5 mb2 vw0 
s_mov_b32 s32, 8                                   // 
_v_cmpx_eq_u32 s[32:33], v4, s32                   // is thread in edge glvw region
v_and_b32 v0, 63, v[vgprSerial]                    // permute register between threads
v_lshlrev_b32 v0, 2, v0                            // permute register between threads
v_accvgpr_read_b32 v5, acc32                       // glvw 5 mb 2 tt1 0 r 0
s_nop 1                                            // v_accvgpr read vgpr after write vgpr: 2 wait states
ds_bpermute_b32 v5, v0, v5, offset:12              // permute edge values
s_waitcnt 0                                        // wait for swizzle operation
v_accvgpr_write_b32 acc32, v5                      // 
v_accvgpr_read_b32 v5, acc33                       // glvw 5 mb 2 tt1 1 r 0
s_nop 1                                            // v_accvgpr read vgpr after write vgpr: 2 wait states
ds_bpermute_b32 v5, v0, v5, offset:12              // permute edge values
s_waitcnt 0                                        // wait for swizzle operation
v_accvgpr_write_b32 acc33, v5                      // 
v_accvgpr_read_b32 v5, acc34                       // glvw 5 mb 2 tt1 2 r 0
s_nop 1                                            // v_accvgpr read vgpr after write vgpr: 2 wait states
ds_bpermute_b32 v5, v0, v5, offset:12              // permute edge values
s_waitcnt 0                                        // wait for swizzle operation
v_accvgpr_write_b32 acc34, v5                      // 
v_accvgpr_read_b32 v5, acc35                       // glvw 5 mb 2 tt1 3 r 0
s_nop 1                                            // v_accvgpr read vgpr after write vgpr: 2 wait states
ds_bpermute_b32 v5, v0, v5, offset:12              // permute edge values
s_waitcnt 0                                        // wait for swizzle operation
v_accvgpr_write_b32 acc35, v5                      // 
v_accvgpr_read_b32 v5, acc36                       // glvw 5 mb 2 tt1 4 r 0
s_nop 1                                            // v_accvgpr read vgpr after write vgpr: 2 wait states
ds_bpermute_b32 v5, v0, v5, offset:12              // permute edge values
s_waitcnt 0                                        // wait for swizzle operation
v_accvgpr_write_b32 acc36, v5                      // 
v_accvgpr_read_b32 v5, acc37                       // glvw 5 mb 2 tt1 5 r 0
s_nop 1                                            // v_accvgpr read vgpr after write vgpr: 2 wait states
ds_bpermute_b32 v5, v0, v5, offset:12              // permute edge values
s_waitcnt 0                                        // wait for swizzle operation
v_accvgpr_write_b32 acc37, v5                      // 
v_accvgpr_read_b32 v5, acc38                       // glvw 5 mb 2 tt1 6 r 0
s_nop 1                                            // v_accvgpr read vgpr after write vgpr: 2 wait states
ds_bpermute_b32 v5, v0, v5, offset:12              // permute edge values
s_waitcnt 0                                        // wait for swizzle operation
v_accvgpr_write_b32 acc38, v5                      // 
v_accvgpr_read_b32 v5, acc39                       // glvw 5 mb 2 tt1 7 r 0
s_nop 1                                            // v_accvgpr read vgpr after write vgpr: 2 wait states
ds_bpermute_b32 v5, v0, v5, offset:12              // permute edge values
s_waitcnt 0                                        // wait for swizzle operation
v_accvgpr_write_b32 acc39, v5                      // 
v_accvgpr_read_b32 v5, acc40                       // glvw 5 mb 2 tt1 8 r 0
s_nop 1                                            // v_accvgpr read vgpr after write vgpr: 2 wait states
ds_bpermute_b32 v5, v0, v5, offset:12              // permute edge values
s_waitcnt 0                                        // wait for swizzle operation
v_accvgpr_write_b32 acc40, v5                      // 
v_accvgpr_read_b32 v5, acc41                       // glvw 5 mb 2 tt1 9 r 0
s_nop 1                                            // v_accvgpr read vgpr after write vgpr: 2 wait states
ds_bpermute_b32 v5, v0, v5, offset:12              // permute edge values
s_waitcnt 0                                        // wait for swizzle operation
v_accvgpr_write_b32 acc41, v5                      // 
v_accvgpr_read_b32 v5, acc42                       // glvw 5 mb 2 tt1 10 r 0
s_nop 1                                            // v_accvgpr read vgpr after write vgpr: 2 wait states
ds_bpermute_b32 v5, v0, v5, offset:12              // permute edge values
s_waitcnt 0                                        // wait for swizzle operation
v_accvgpr_write_b32 acc42, v5                      // 
v_accvgpr_read_b32 v5, acc43                       // glvw 5 mb 2 tt1 11 r 0
s_nop 1                                            // v_accvgpr read vgpr after write vgpr: 2 wait states
ds_bpermute_b32 v5, v0, v5, offset:12              // permute edge values
s_waitcnt 0                                        // wait for swizzle operation
v_accvgpr_write_b32 acc43, v5                      // 
v_accvgpr_read_b32 v5, acc44                       // glvw 5 mb 2 tt1 12 r 0
s_nop 1                                            // v_accvgpr read vgpr after write vgpr: 2 wait states
ds_bpermute_b32 v5, v0, v5, offset:12              // permute edge values
s_waitcnt 0                                        // wait for swizzle operation
v_accvgpr_write_b32 acc44, v5                      // 
v_accvgpr_read_b32 v5, acc45                       // glvw 5 mb 2 tt1 13 r 0
s_nop 1                                            // v_accvgpr read vgpr after write vgpr: 2 wait states
ds_bpermute_b32 v5, v0, v5, offset:12              // permute edge values
s_waitcnt 0                                        // wait for swizzle operation
v_accvgpr_write_b32 acc45, v5                      // 
v_accvgpr_read_b32 v5, acc46                       // glvw 5 mb 2 tt1 14 r 0
s_nop 1                                            // v_accvgpr read vgpr after write vgpr: 2 wait states
ds_bpermute_b32 v5, v0, v5, offset:12              // permute edge values
s_waitcnt 0                                        // wait for swizzle operation
v_accvgpr_write_b32 acc46, v5                      // 
v_accvgpr_read_b32 v5, acc47                       // glvw 5 mb 2 tt1 15 r 0
s_nop 1                                            // v_accvgpr read vgpr after write vgpr: 2 wait states
ds_bpermute_b32 v5, v0, v5, offset:12              // permute edge values
s_waitcnt 0                                        // wait for swizzle operation
v_accvgpr_write_b32 acc47, v5                      // 
s_mov_b64 s[32:33], 0xFFFFFFFFFFFFFFFF             // to restore all threads active
s_or_saveexec_b64 vcc, s[32:33]                    // all threads active
s_branch label_0079                                // done shifting


/******************************************/
/* shift d1 r=6 mb=0 vw0                  */
/******************************************/
label_0067: // r6 mb0 vw0 
s_mov_b32 s32, 0                                   // 
_v_cmpx_eq_u32 s[32:33], v4, s32                   // is thread in edge glvw region
v_and_b32 v0, 63, v[vgprSerial]                    // permute register between threads
v_lshlrev_b32 v0, 2, v0                            // permute register between threads
v_accvgpr_read_b32 v5, acc0                        // glvw 6 mb 0 tt1 0 r 0
s_nop 1                                            // v_accvgpr read vgpr after write vgpr: 2 wait states
ds_bpermute_b32 v5, v0, v5, offset:8               // permute edge values
s_waitcnt 0                                        // wait for swizzle operation
v_accvgpr_write_b32 acc0, v5                       // 
v_accvgpr_read_b32 v5, acc1                        // glvw 6 mb 0 tt1 1 r 0
s_nop 1                                            // v_accvgpr read vgpr after write vgpr: 2 wait states
ds_bpermute_b32 v5, v0, v5, offset:8               // permute edge values
s_waitcnt 0                                        // wait for swizzle operation
v_accvgpr_write_b32 acc1, v5                       // 
v_accvgpr_read_b32 v5, acc2                        // glvw 6 mb 0 tt1 2 r 0
s_nop 1                                            // v_accvgpr read vgpr after write vgpr: 2 wait states
ds_bpermute_b32 v5, v0, v5, offset:8               // permute edge values
s_waitcnt 0                                        // wait for swizzle operation
v_accvgpr_write_b32 acc2, v5                       // 
v_accvgpr_read_b32 v5, acc3                        // glvw 6 mb 0 tt1 3 r 0
s_nop 1                                            // v_accvgpr read vgpr after write vgpr: 2 wait states
ds_bpermute_b32 v5, v0, v5, offset:8               // permute edge values
s_waitcnt 0                                        // wait for swizzle operation
v_accvgpr_write_b32 acc3, v5                       // 
v_accvgpr_read_b32 v5, acc4                        // glvw 6 mb 0 tt1 4 r 0
s_nop 1                                            // v_accvgpr read vgpr after write vgpr: 2 wait states
ds_bpermute_b32 v5, v0, v5, offset:8               // permute edge values
s_waitcnt 0                                        // wait for swizzle operation
v_accvgpr_write_b32 acc4, v5                       // 
v_accvgpr_read_b32 v5, acc5                        // glvw 6 mb 0 tt1 5 r 0
s_nop 1                                            // v_accvgpr read vgpr after write vgpr: 2 wait states
ds_bpermute_b32 v5, v0, v5, offset:8               // permute edge values
s_waitcnt 0                                        // wait for swizzle operation
v_accvgpr_write_b32 acc5, v5                       // 
v_accvgpr_read_b32 v5, acc6                        // glvw 6 mb 0 tt1 6 r 0
s_nop 1                                            // v_accvgpr read vgpr after write vgpr: 2 wait states
ds_bpermute_b32 v5, v0, v5, offset:8               // permute edge values
s_waitcnt 0                                        // wait for swizzle operation
v_accvgpr_write_b32 acc6, v5                       // 
v_accvgpr_read_b32 v5, acc7                        // glvw 6 mb 0 tt1 7 r 0
s_nop 1                                            // v_accvgpr read vgpr after write vgpr: 2 wait states
ds_bpermute_b32 v5, v0, v5, offset:8               // permute edge values
s_waitcnt 0                                        // wait for swizzle operation
v_accvgpr_write_b32 acc7, v5                       // 
v_accvgpr_read_b32 v5, acc8                        // glvw 6 mb 0 tt1 8 r 0
s_nop 1                                            // v_accvgpr read vgpr after write vgpr: 2 wait states
ds_bpermute_b32 v5, v0, v5, offset:8               // permute edge values
s_waitcnt 0                                        // wait for swizzle operation
v_accvgpr_write_b32 acc8, v5                       // 
v_accvgpr_read_b32 v5, acc9                        // glvw 6 mb 0 tt1 9 r 0
s_nop 1                                            // v_accvgpr read vgpr after write vgpr: 2 wait states
ds_bpermute_b32 v5, v0, v5, offset:8               // permute edge values
s_waitcnt 0                                        // wait for swizzle operation
v_accvgpr_write_b32 acc9, v5                       // 
v_accvgpr_read_b32 v5, acc10                       // glvw 6 mb 0 tt1 10 r 0
s_nop 1                                            // v_accvgpr read vgpr after write vgpr: 2 wait states
ds_bpermute_b32 v5, v0, v5, offset:8               // permute edge values
s_waitcnt 0                                        // wait for swizzle operation
v_accvgpr_write_b32 acc10, v5                      // 
v_accvgpr_read_b32 v5, acc11                       // glvw 6 mb 0 tt1 11 r 0
s_nop 1                                            // v_accvgpr read vgpr after write vgpr: 2 wait states
ds_bpermute_b32 v5, v0, v5, offset:8               // permute edge values
s_waitcnt 0                                        // wait for swizzle operation
v_accvgpr_write_b32 acc11, v5                      // 
v_accvgpr_read_b32 v5, acc12                       // glvw 6 mb 0 tt1 12 r 0
s_nop 1                                            // v_accvgpr read vgpr after write vgpr: 2 wait states
ds_bpermute_b32 v5, v0, v5, offset:8               // permute edge values
s_waitcnt 0                                        // wait for swizzle operation
v_accvgpr_write_b32 acc12, v5                      // 
v_accvgpr_read_b32 v5, acc13                       // glvw 6 mb 0 tt1 13 r 0
s_nop 1                                            // v_accvgpr read vgpr after write vgpr: 2 wait states
ds_bpermute_b32 v5, v0, v5, offset:8               // permute edge values
s_waitcnt 0                                        // wait for swizzle operation
v_accvgpr_write_b32 acc13, v5                      // 
v_accvgpr_read_b32 v5, acc14                       // glvw 6 mb 0 tt1 14 r 0
s_nop 1                                            // v_accvgpr read vgpr after write vgpr: 2 wait states
ds_bpermute_b32 v5, v0, v5, offset:8               // permute edge values
s_waitcnt 0                                        // wait for swizzle operation
v_accvgpr_write_b32 acc14, v5                      // 
v_accvgpr_read_b32 v5, acc15                       // glvw 6 mb 0 tt1 15 r 0
s_nop 1                                            // v_accvgpr read vgpr after write vgpr: 2 wait states
ds_bpermute_b32 v5, v0, v5, offset:8               // permute edge values
s_waitcnt 0                                        // wait for swizzle operation
v_accvgpr_write_b32 acc15, v5                      // 
s_mov_b64 s[32:33], 0xFFFFFFFFFFFFFFFF             // to restore all threads active
s_or_saveexec_b64 vcc, s[32:33]                    // all threads active
s_branch label_0079                                // done shifting


/******************************************/
/* shift d1 r=6 mb=1 vw0                  */
/******************************************/
label_0069: // r6 mb1 vw0 
s_mov_b32 s32, 4                                   // 
_v_cmpx_eq_u32 s[32:33], v4, s32                   // is thread in edge glvw region
v_and_b32 v0, 63, v[vgprSerial]                    // permute register between threads
v_lshlrev_b32 v0, 2, v0                            // permute register between threads
v_accvgpr_read_b32 v5, acc16                       // glvw 6 mb 1 tt1 0 r 0
s_nop 1                                            // v_accvgpr read vgpr after write vgpr: 2 wait states
ds_bpermute_b32 v5, v0, v5, offset:8               // permute edge values
s_waitcnt 0                                        // wait for swizzle operation
v_accvgpr_write_b32 acc16, v5                      // 
v_accvgpr_read_b32 v5, acc17                       // glvw 6 mb 1 tt1 1 r 0
s_nop 1                                            // v_accvgpr read vgpr after write vgpr: 2 wait states
ds_bpermute_b32 v5, v0, v5, offset:8               // permute edge values
s_waitcnt 0                                        // wait for swizzle operation
v_accvgpr_write_b32 acc17, v5                      // 
v_accvgpr_read_b32 v5, acc18                       // glvw 6 mb 1 tt1 2 r 0
s_nop 1                                            // v_accvgpr read vgpr after write vgpr: 2 wait states
ds_bpermute_b32 v5, v0, v5, offset:8               // permute edge values
s_waitcnt 0                                        // wait for swizzle operation
v_accvgpr_write_b32 acc18, v5                      // 
v_accvgpr_read_b32 v5, acc19                       // glvw 6 mb 1 tt1 3 r 0
s_nop 1                                            // v_accvgpr read vgpr after write vgpr: 2 wait states
ds_bpermute_b32 v5, v0, v5, offset:8               // permute edge values
s_waitcnt 0                                        // wait for swizzle operation
v_accvgpr_write_b32 acc19, v5                      // 
v_accvgpr_read_b32 v5, acc20                       // glvw 6 mb 1 tt1 4 r 0
s_nop 1                                            // v_accvgpr read vgpr after write vgpr: 2 wait states
ds_bpermute_b32 v5, v0, v5, offset:8               // permute edge values
s_waitcnt 0                                        // wait for swizzle operation
v_accvgpr_write_b32 acc20, v5                      // 
v_accvgpr_read_b32 v5, acc21                       // glvw 6 mb 1 tt1 5 r 0
s_nop 1                                            // v_accvgpr read vgpr after write vgpr: 2 wait states
ds_bpermute_b32 v5, v0, v5, offset:8               // permute edge values
s_waitcnt 0                                        // wait for swizzle operation
v_accvgpr_write_b32 acc21, v5                      // 
v_accvgpr_read_b32 v5, acc22                       // glvw 6 mb 1 tt1 6 r 0
s_nop 1                                            // v_accvgpr read vgpr after write vgpr: 2 wait states
ds_bpermute_b32 v5, v0, v5, offset:8               // permute edge values
s_waitcnt 0                                        // wait for swizzle operation
v_accvgpr_write_b32 acc22, v5                      // 
v_accvgpr_read_b32 v5, acc23                       // glvw 6 mb 1 tt1 7 r 0
s_nop 1                                            // v_accvgpr read vgpr after write vgpr: 2 wait states
ds_bpermute_b32 v5, v0, v5, offset:8               // permute edge values
s_waitcnt 0                                        // wait for swizzle operation
v_accvgpr_write_b32 acc23, v5                      // 
v_accvgpr_read_b32 v5, acc24                       // glvw 6 mb 1 tt1 8 r 0
s_nop 1                                            // v_accvgpr read vgpr after write vgpr: 2 wait states
ds_bpermute_b32 v5, v0, v5, offset:8               // permute edge values
s_waitcnt 0                                        // wait for swizzle operation
v_accvgpr_write_b32 acc24, v5                      // 
v_accvgpr_read_b32 v5, acc25                       // glvw 6 mb 1 tt1 9 r 0
s_nop 1                                            // v_accvgpr read vgpr after write vgpr: 2 wait states
ds_bpermute_b32 v5, v0, v5, offset:8               // permute edge values
s_waitcnt 0                                        // wait for swizzle operation
v_accvgpr_write_b32 acc25, v5                      // 
v_accvgpr_read_b32 v5, acc26                       // glvw 6 mb 1 tt1 10 r 0
s_nop 1                                            // v_accvgpr read vgpr after write vgpr: 2 wait states
ds_bpermute_b32 v5, v0, v5, offset:8               // permute edge values
s_waitcnt 0                                        // wait for swizzle operation
v_accvgpr_write_b32 acc26, v5                      // 
v_accvgpr_read_b32 v5, acc27                       // glvw 6 mb 1 tt1 11 r 0
s_nop 1                                            // v_accvgpr read vgpr after write vgpr: 2 wait states
ds_bpermute_b32 v5, v0, v5, offset:8               // permute edge values
s_waitcnt 0                                        // wait for swizzle operation
v_accvgpr_write_b32 acc27, v5                      // 
v_accvgpr_read_b32 v5, acc28                       // glvw 6 mb 1 tt1 12 r 0
s_nop 1                                            // v_accvgpr read vgpr after write vgpr: 2 wait states
ds_bpermute_b32 v5, v0, v5, offset:8               // permute edge values
s_waitcnt 0                                        // wait for swizzle operation
v_accvgpr_write_b32 acc28, v5                      // 
v_accvgpr_read_b32 v5, acc29                       // glvw 6 mb 1 tt1 13 r 0
s_nop 1                                            // v_accvgpr read vgpr after write vgpr: 2 wait states
ds_bpermute_b32 v5, v0, v5, offset:8               // permute edge values
s_waitcnt 0                                        // wait for swizzle operation
v_accvgpr_write_b32 acc29, v5                      // 
v_accvgpr_read_b32 v5, acc30                       // glvw 6 mb 1 tt1 14 r 0
s_nop 1                                            // v_accvgpr read vgpr after write vgpr: 2 wait states
ds_bpermute_b32 v5, v0, v5, offset:8               // permute edge values
s_waitcnt 0                                        // wait for swizzle operation
v_accvgpr_write_b32 acc30, v5                      // 
v_accvgpr_read_b32 v5, acc31                       // glvw 6 mb 1 tt1 15 r 0
s_nop 1                                            // v_accvgpr read vgpr after write vgpr: 2 wait states
ds_bpermute_b32 v5, v0, v5, offset:8               // permute edge values
s_waitcnt 0                                        // wait for swizzle operation
v_accvgpr_write_b32 acc31, v5                      // 
s_mov_b64 s[32:33], 0xFFFFFFFFFFFFFFFF             // to restore all threads active
s_or_saveexec_b64 vcc, s[32:33]                    // all threads active
s_branch label_0079                                // done shifting


/******************************************/
/* shift d1 r=6 mb=2 vw0                  */
/******************************************/
label_0071: // r6 mb2 vw0 
s_mov_b32 s32, 8                                   // 
_v_cmpx_eq_u32 s[32:33], v4, s32                   // is thread in edge glvw region
v_and_b32 v0, 63, v[vgprSerial]                    // permute register between threads
v_lshlrev_b32 v0, 2, v0                            // permute register between threads
v_accvgpr_read_b32 v5, acc32                       // glvw 6 mb 2 tt1 0 r 0
s_nop 1                                            // v_accvgpr read vgpr after write vgpr: 2 wait states
ds_bpermute_b32 v5, v0, v5, offset:8               // permute edge values
s_waitcnt 0                                        // wait for swizzle operation
v_accvgpr_write_b32 acc32, v5                      // 
v_accvgpr_read_b32 v5, acc33                       // glvw 6 mb 2 tt1 1 r 0
s_nop 1                                            // v_accvgpr read vgpr after write vgpr: 2 wait states
ds_bpermute_b32 v5, v0, v5, offset:8               // permute edge values
s_waitcnt 0                                        // wait for swizzle operation
v_accvgpr_write_b32 acc33, v5                      // 
v_accvgpr_read_b32 v5, acc34                       // glvw 6 mb 2 tt1 2 r 0
s_nop 1                                            // v_accvgpr read vgpr after write vgpr: 2 wait states
ds_bpermute_b32 v5, v0, v5, offset:8               // permute edge values
s_waitcnt 0                                        // wait for swizzle operation
v_accvgpr_write_b32 acc34, v5                      // 
v_accvgpr_read_b32 v5, acc35                       // glvw 6 mb 2 tt1 3 r 0
s_nop 1                                            // v_accvgpr read vgpr after write vgpr: 2 wait states
ds_bpermute_b32 v5, v0, v5, offset:8               // permute edge values
s_waitcnt 0                                        // wait for swizzle operation
v_accvgpr_write_b32 acc35, v5                      // 
v_accvgpr_read_b32 v5, acc36                       // glvw 6 mb 2 tt1 4 r 0
s_nop 1                                            // v_accvgpr read vgpr after write vgpr: 2 wait states
ds_bpermute_b32 v5, v0, v5, offset:8               // permute edge values
s_waitcnt 0                                        // wait for swizzle operation
v_accvgpr_write_b32 acc36, v5                      // 
v_accvgpr_read_b32 v5, acc37                       // glvw 6 mb 2 tt1 5 r 0
s_nop 1                                            // v_accvgpr read vgpr after write vgpr: 2 wait states
ds_bpermute_b32 v5, v0, v5, offset:8               // permute edge values
s_waitcnt 0                                        // wait for swizzle operation
v_accvgpr_write_b32 acc37, v5                      // 
v_accvgpr_read_b32 v5, acc38                       // glvw 6 mb 2 tt1 6 r 0
s_nop 1                                            // v_accvgpr read vgpr after write vgpr: 2 wait states
ds_bpermute_b32 v5, v0, v5, offset:8               // permute edge values
s_waitcnt 0                                        // wait for swizzle operation
v_accvgpr_write_b32 acc38, v5                      // 
v_accvgpr_read_b32 v5, acc39                       // glvw 6 mb 2 tt1 7 r 0
s_nop 1                                            // v_accvgpr read vgpr after write vgpr: 2 wait states
ds_bpermute_b32 v5, v0, v5, offset:8               // permute edge values
s_waitcnt 0                                        // wait for swizzle operation
v_accvgpr_write_b32 acc39, v5                      // 
v_accvgpr_read_b32 v5, acc40                       // glvw 6 mb 2 tt1 8 r 0
s_nop 1                                            // v_accvgpr read vgpr after write vgpr: 2 wait states
ds_bpermute_b32 v5, v0, v5, offset:8               // permute edge values
s_waitcnt 0                                        // wait for swizzle operation
v_accvgpr_write_b32 acc40, v5                      // 
v_accvgpr_read_b32 v5, acc41                       // glvw 6 mb 2 tt1 9 r 0
s_nop 1                                            // v_accvgpr read vgpr after write vgpr: 2 wait states
ds_bpermute_b32 v5, v0, v5, offset:8               // permute edge values
s_waitcnt 0                                        // wait for swizzle operation
v_accvgpr_write_b32 acc41, v5                      // 
v_accvgpr_read_b32 v5, acc42                       // glvw 6 mb 2 tt1 10 r 0
s_nop 1                                            // v_accvgpr read vgpr after write vgpr: 2 wait states
ds_bpermute_b32 v5, v0, v5, offset:8               // permute edge values
s_waitcnt 0                                        // wait for swizzle operation
v_accvgpr_write_b32 acc42, v5                      // 
v_accvgpr_read_b32 v5, acc43                       // glvw 6 mb 2 tt1 11 r 0
s_nop 1                                            // v_accvgpr read vgpr after write vgpr: 2 wait states
ds_bpermute_b32 v5, v0, v5, offset:8               // permute edge values
s_waitcnt 0                                        // wait for swizzle operation
v_accvgpr_write_b32 acc43, v5                      // 
v_accvgpr_read_b32 v5, acc44                       // glvw 6 mb 2 tt1 12 r 0
s_nop 1                                            // v_accvgpr read vgpr after write vgpr: 2 wait states
ds_bpermute_b32 v5, v0, v5, offset:8               // permute edge values
s_waitcnt 0                                        // wait for swizzle operation
v_accvgpr_write_b32 acc44, v5                      // 
v_accvgpr_read_b32 v5, acc45                       // glvw 6 mb 2 tt1 13 r 0
s_nop 1                                            // v_accvgpr read vgpr after write vgpr: 2 wait states
ds_bpermute_b32 v5, v0, v5, offset:8               // permute edge values
s_waitcnt 0                                        // wait for swizzle operation
v_accvgpr_write_b32 acc45, v5                      // 
v_accvgpr_read_b32 v5, acc46                       // glvw 6 mb 2 tt1 14 r 0
s_nop 1                                            // v_accvgpr read vgpr after write vgpr: 2 wait states
ds_bpermute_b32 v5, v0, v5, offset:8               // permute edge values
s_waitcnt 0                                        // wait for swizzle operation
v_accvgpr_write_b32 acc46, v5                      // 
v_accvgpr_read_b32 v5, acc47                       // glvw 6 mb 2 tt1 15 r 0
s_nop 1                                            // v_accvgpr read vgpr after write vgpr: 2 wait states
ds_bpermute_b32 v5, v0, v5, offset:8               // permute edge values
s_waitcnt 0                                        // wait for swizzle operation
v_accvgpr_write_b32 acc47, v5                      // 
s_mov_b64 s[32:33], 0xFFFFFFFFFFFFFFFF             // to restore all threads active
s_or_saveexec_b64 vcc, s[32:33]                    // all threads active
s_branch label_0079                                // done shifting


/******************************************/
/* shift d1 r=7 mb=0 vw0                  */
/******************************************/
label_0074: // r7 mb0 vw0 
s_mov_b32 s32, 0                                   // 
_v_cmpx_eq_u32 s[32:33], v4, s32                   // is thread in edge glvw region
v_and_b32 v0, 63, v[vgprSerial]                    // permute register between threads
v_lshlrev_b32 v0, 2, v0                            // permute register between threads
v_accvgpr_read_b32 v5, acc0                        // glvw 7 mb 0 tt1 0 r 0
s_nop 1                                            // v_accvgpr read vgpr after write vgpr: 2 wait states
ds_bpermute_b32 v5, v0, v5, offset:4               // permute edge values
s_waitcnt 0                                        // wait for swizzle operation
v_accvgpr_write_b32 acc0, v5                       // 
v_accvgpr_read_b32 v5, acc1                        // glvw 7 mb 0 tt1 1 r 0
s_nop 1                                            // v_accvgpr read vgpr after write vgpr: 2 wait states
ds_bpermute_b32 v5, v0, v5, offset:4               // permute edge values
s_waitcnt 0                                        // wait for swizzle operation
v_accvgpr_write_b32 acc1, v5                       // 
v_accvgpr_read_b32 v5, acc2                        // glvw 7 mb 0 tt1 2 r 0
s_nop 1                                            // v_accvgpr read vgpr after write vgpr: 2 wait states
ds_bpermute_b32 v5, v0, v5, offset:4               // permute edge values
s_waitcnt 0                                        // wait for swizzle operation
v_accvgpr_write_b32 acc2, v5                       // 
v_accvgpr_read_b32 v5, acc3                        // glvw 7 mb 0 tt1 3 r 0
s_nop 1                                            // v_accvgpr read vgpr after write vgpr: 2 wait states
ds_bpermute_b32 v5, v0, v5, offset:4               // permute edge values
s_waitcnt 0                                        // wait for swizzle operation
v_accvgpr_write_b32 acc3, v5                       // 
v_accvgpr_read_b32 v5, acc4                        // glvw 7 mb 0 tt1 4 r 0
s_nop 1                                            // v_accvgpr read vgpr after write vgpr: 2 wait states
ds_bpermute_b32 v5, v0, v5, offset:4               // permute edge values
s_waitcnt 0                                        // wait for swizzle operation
v_accvgpr_write_b32 acc4, v5                       // 
v_accvgpr_read_b32 v5, acc5                        // glvw 7 mb 0 tt1 5 r 0
s_nop 1                                            // v_accvgpr read vgpr after write vgpr: 2 wait states
ds_bpermute_b32 v5, v0, v5, offset:4               // permute edge values
s_waitcnt 0                                        // wait for swizzle operation
v_accvgpr_write_b32 acc5, v5                       // 
v_accvgpr_read_b32 v5, acc6                        // glvw 7 mb 0 tt1 6 r 0
s_nop 1                                            // v_accvgpr read vgpr after write vgpr: 2 wait states
ds_bpermute_b32 v5, v0, v5, offset:4               // permute edge values
s_waitcnt 0                                        // wait for swizzle operation
v_accvgpr_write_b32 acc6, v5                       // 
v_accvgpr_read_b32 v5, acc7                        // glvw 7 mb 0 tt1 7 r 0
s_nop 1                                            // v_accvgpr read vgpr after write vgpr: 2 wait states
ds_bpermute_b32 v5, v0, v5, offset:4               // permute edge values
s_waitcnt 0                                        // wait for swizzle operation
v_accvgpr_write_b32 acc7, v5                       // 
v_accvgpr_read_b32 v5, acc8                        // glvw 7 mb 0 tt1 8 r 0
s_nop 1                                            // v_accvgpr read vgpr after write vgpr: 2 wait states
ds_bpermute_b32 v5, v0, v5, offset:4               // permute edge values
s_waitcnt 0                                        // wait for swizzle operation
v_accvgpr_write_b32 acc8, v5                       // 
v_accvgpr_read_b32 v5, acc9                        // glvw 7 mb 0 tt1 9 r 0
s_nop 1                                            // v_accvgpr read vgpr after write vgpr: 2 wait states
ds_bpermute_b32 v5, v0, v5, offset:4               // permute edge values
s_waitcnt 0                                        // wait for swizzle operation
v_accvgpr_write_b32 acc9, v5                       // 
v_accvgpr_read_b32 v5, acc10                       // glvw 7 mb 0 tt1 10 r 0
s_nop 1                                            // v_accvgpr read vgpr after write vgpr: 2 wait states
ds_bpermute_b32 v5, v0, v5, offset:4               // permute edge values
s_waitcnt 0                                        // wait for swizzle operation
v_accvgpr_write_b32 acc10, v5                      // 
v_accvgpr_read_b32 v5, acc11                       // glvw 7 mb 0 tt1 11 r 0
s_nop 1                                            // v_accvgpr read vgpr after write vgpr: 2 wait states
ds_bpermute_b32 v5, v0, v5, offset:4               // permute edge values
s_waitcnt 0                                        // wait for swizzle operation
v_accvgpr_write_b32 acc11, v5                      // 
v_accvgpr_read_b32 v5, acc12                       // glvw 7 mb 0 tt1 12 r 0
s_nop 1                                            // v_accvgpr read vgpr after write vgpr: 2 wait states
ds_bpermute_b32 v5, v0, v5, offset:4               // permute edge values
s_waitcnt 0                                        // wait for swizzle operation
v_accvgpr_write_b32 acc12, v5                      // 
v_accvgpr_read_b32 v5, acc13                       // glvw 7 mb 0 tt1 13 r 0
s_nop 1                                            // v_accvgpr read vgpr after write vgpr: 2 wait states
ds_bpermute_b32 v5, v0, v5, offset:4               // permute edge values
s_waitcnt 0                                        // wait for swizzle operation
v_accvgpr_write_b32 acc13, v5                      // 
v_accvgpr_read_b32 v5, acc14                       // glvw 7 mb 0 tt1 14 r 0
s_nop 1                                            // v_accvgpr read vgpr after write vgpr: 2 wait states
ds_bpermute_b32 v5, v0, v5, offset:4               // permute edge values
s_waitcnt 0                                        // wait for swizzle operation
v_accvgpr_write_b32 acc14, v5                      // 
v_accvgpr_read_b32 v5, acc15                       // glvw 7 mb 0 tt1 15 r 0
s_nop 1                                            // v_accvgpr read vgpr after write vgpr: 2 wait states
ds_bpermute_b32 v5, v0, v5, offset:4               // permute edge values
s_waitcnt 0                                        // wait for swizzle operation
v_accvgpr_write_b32 acc15, v5                      // 
s_mov_b64 s[32:33], 0xFFFFFFFFFFFFFFFF             // to restore all threads active
s_or_saveexec_b64 vcc, s[32:33]                    // all threads active
s_branch label_0079                                // done shifting


/******************************************/
/* shift d1 r=7 mb=1 vw0                  */
/******************************************/
label_0076: // r7 mb1 vw0 
s_mov_b32 s32, 4                                   // 
_v_cmpx_eq_u32 s[32:33], v4, s32                   // is thread in edge glvw region
v_and_b32 v0, 63, v[vgprSerial]                    // permute register between threads
v_lshlrev_b32 v0, 2, v0                            // permute register between threads
v_accvgpr_read_b32 v5, acc16                       // glvw 7 mb 1 tt1 0 r 0
s_nop 1                                            // v_accvgpr read vgpr after write vgpr: 2 wait states
ds_bpermute_b32 v5, v0, v5, offset:4               // permute edge values
s_waitcnt 0                                        // wait for swizzle operation
v_accvgpr_write_b32 acc16, v5                      // 
v_accvgpr_read_b32 v5, acc17                       // glvw 7 mb 1 tt1 1 r 0
s_nop 1                                            // v_accvgpr read vgpr after write vgpr: 2 wait states
ds_bpermute_b32 v5, v0, v5, offset:4               // permute edge values
s_waitcnt 0                                        // wait for swizzle operation
v_accvgpr_write_b32 acc17, v5                      // 
v_accvgpr_read_b32 v5, acc18                       // glvw 7 mb 1 tt1 2 r 0
s_nop 1                                            // v_accvgpr read vgpr after write vgpr: 2 wait states
ds_bpermute_b32 v5, v0, v5, offset:4               // permute edge values
s_waitcnt 0                                        // wait for swizzle operation
v_accvgpr_write_b32 acc18, v5                      // 
v_accvgpr_read_b32 v5, acc19                       // glvw 7 mb 1 tt1 3 r 0
s_nop 1                                            // v_accvgpr read vgpr after write vgpr: 2 wait states
ds_bpermute_b32 v5, v0, v5, offset:4               // permute edge values
s_waitcnt 0                                        // wait for swizzle operation
v_accvgpr_write_b32 acc19, v5                      // 
v_accvgpr_read_b32 v5, acc20                       // glvw 7 mb 1 tt1 4 r 0
s_nop 1                                            // v_accvgpr read vgpr after write vgpr: 2 wait states
ds_bpermute_b32 v5, v0, v5, offset:4               // permute edge values
s_waitcnt 0                                        // wait for swizzle operation
v_accvgpr_write_b32 acc20, v5                      // 
v_accvgpr_read_b32 v5, acc21                       // glvw 7 mb 1 tt1 5 r 0
s_nop 1                                            // v_accvgpr read vgpr after write vgpr: 2 wait states
ds_bpermute_b32 v5, v0, v5, offset:4               // permute edge values
s_waitcnt 0                                        // wait for swizzle operation
v_accvgpr_write_b32 acc21, v5                      // 
v_accvgpr_read_b32 v5, acc22                       // glvw 7 mb 1 tt1 6 r 0
s_nop 1                                            // v_accvgpr read vgpr after write vgpr: 2 wait states
ds_bpermute_b32 v5, v0, v5, offset:4               // permute edge values
s_waitcnt 0                                        // wait for swizzle operation
v_accvgpr_write_b32 acc22, v5                      // 
v_accvgpr_read_b32 v5, acc23                       // glvw 7 mb 1 tt1 7 r 0
s_nop 1                                            // v_accvgpr read vgpr after write vgpr: 2 wait states
ds_bpermute_b32 v5, v0, v5, offset:4               // permute edge values
s_waitcnt 0                                        // wait for swizzle operation
v_accvgpr_write_b32 acc23, v5                      // 
v_accvgpr_read_b32 v5, acc24                       // glvw 7 mb 1 tt1 8 r 0
s_nop 1                                            // v_accvgpr read vgpr after write vgpr: 2 wait states
ds_bpermute_b32 v5, v0, v5, offset:4               // permute edge values
s_waitcnt 0                                        // wait for swizzle operation
v_accvgpr_write_b32 acc24, v5                      // 
v_accvgpr_read_b32 v5, acc25                       // glvw 7 mb 1 tt1 9 r 0
s_nop 1                                            // v_accvgpr read vgpr after write vgpr: 2 wait states
ds_bpermute_b32 v5, v0, v5, offset:4               // permute edge values
s_waitcnt 0                                        // wait for swizzle operation
v_accvgpr_write_b32 acc25, v5                      // 
v_accvgpr_read_b32 v5, acc26                       // glvw 7 mb 1 tt1 10 r 0
s_nop 1                                            // v_accvgpr read vgpr after write vgpr: 2 wait states
ds_bpermute_b32 v5, v0, v5, offset:4               // permute edge values
s_waitcnt 0                                        // wait for swizzle operation
v_accvgpr_write_b32 acc26, v5                      // 
v_accvgpr_read_b32 v5, acc27                       // glvw 7 mb 1 tt1 11 r 0
s_nop 1                                            // v_accvgpr read vgpr after write vgpr: 2 wait states
ds_bpermute_b32 v5, v0, v5, offset:4               // permute edge values
s_waitcnt 0                                        // wait for swizzle operation
v_accvgpr_write_b32 acc27, v5                      // 
v_accvgpr_read_b32 v5, acc28                       // glvw 7 mb 1 tt1 12 r 0
s_nop 1                                            // v_accvgpr read vgpr after write vgpr: 2 wait states
ds_bpermute_b32 v5, v0, v5, offset:4               // permute edge values
s_waitcnt 0                                        // wait for swizzle operation
v_accvgpr_write_b32 acc28, v5                      // 
v_accvgpr_read_b32 v5, acc29                       // glvw 7 mb 1 tt1 13 r 0
s_nop 1                                            // v_accvgpr read vgpr after write vgpr: 2 wait states
ds_bpermute_b32 v5, v0, v5, offset:4               // permute edge values
s_waitcnt 0                                        // wait for swizzle operation
v_accvgpr_write_b32 acc29, v5                      // 
v_accvgpr_read_b32 v5, acc30                       // glvw 7 mb 1 tt1 14 r 0
s_nop 1                                            // v_accvgpr read vgpr after write vgpr: 2 wait states
ds_bpermute_b32 v5, v0, v5, offset:4               // permute edge values
s_waitcnt 0                                        // wait for swizzle operation
v_accvgpr_write_b32 acc30, v5                      // 
v_accvgpr_read_b32 v5, acc31                       // glvw 7 mb 1 tt1 15 r 0
s_nop 1                                            // v_accvgpr read vgpr after write vgpr: 2 wait states
ds_bpermute_b32 v5, v0, v5, offset:4               // permute edge values
s_waitcnt 0                                        // wait for swizzle operation
v_accvgpr_write_b32 acc31, v5                      // 
s_mov_b64 s[32:33], 0xFFFFFFFFFFFFFFFF             // to restore all threads active
s_or_saveexec_b64 vcc, s[32:33]                    // all threads active
s_branch label_0079                                // done shifting


/******************************************/
/* shift d1 r=7 mb=2 vw0                  */
/******************************************/
label_0078: // r7 mb2 vw0 
s_mov_b32 s32, 8                                   // 
_v_cmpx_eq_u32 s[32:33], v4, s32                   // is thread in edge glvw region
v_and_b32 v0, 63, v[vgprSerial]                    // permute register between threads
v_lshlrev_b32 v0, 2, v0                            // permute register between threads
v_accvgpr_read_b32 v5, acc32                       // glvw 7 mb 2 tt1 0 r 0
s_nop 1                                            // v_accvgpr read vgpr after write vgpr: 2 wait states
ds_bpermute_b32 v5, v0, v5, offset:4               // permute edge values
s_waitcnt 0                                        // wait for swizzle operation
v_accvgpr_write_b32 acc32, v5                      // 
v_accvgpr_read_b32 v5, acc33                       // glvw 7 mb 2 tt1 1 r 0
s_nop 1                                            // v_accvgpr read vgpr after write vgpr: 2 wait states
ds_bpermute_b32 v5, v0, v5, offset:4               // permute edge values
s_waitcnt 0                                        // wait for swizzle operation
v_accvgpr_write_b32 acc33, v5                      // 
v_accvgpr_read_b32 v5, acc34                       // glvw 7 mb 2 tt1 2 r 0
s_nop 1                                            // v_accvgpr read vgpr after write vgpr: 2 wait states
ds_bpermute_b32 v5, v0, v5, offset:4               // permute edge values
s_waitcnt 0                                        // wait for swizzle operation
v_accvgpr_write_b32 acc34, v5                      // 
v_accvgpr_read_b32 v5, acc35                       // glvw 7 mb 2 tt1 3 r 0
s_nop 1                                            // v_accvgpr read vgpr after write vgpr: 2 wait states
ds_bpermute_b32 v5, v0, v5, offset:4               // permute edge values
s_waitcnt 0                                        // wait for swizzle operation
v_accvgpr_write_b32 acc35, v5                      // 
v_accvgpr_read_b32 v5, acc36                       // glvw 7 mb 2 tt1 4 r 0
s_nop 1                                            // v_accvgpr read vgpr after write vgpr: 2 wait states
ds_bpermute_b32 v5, v0, v5, offset:4               // permute edge values
s_waitcnt 0                                        // wait for swizzle operation
v_accvgpr_write_b32 acc36, v5                      // 
v_accvgpr_read_b32 v5, acc37                       // glvw 7 mb 2 tt1 5 r 0
s_nop 1                                            // v_accvgpr read vgpr after write vgpr: 2 wait states
ds_bpermute_b32 v5, v0, v5, offset:4               // permute edge values
s_waitcnt 0                                        // wait for swizzle operation
v_accvgpr_write_b32 acc37, v5                      // 
v_accvgpr_read_b32 v5, acc38                       // glvw 7 mb 2 tt1 6 r 0
s_nop 1                                            // v_accvgpr read vgpr after write vgpr: 2 wait states
ds_bpermute_b32 v5, v0, v5, offset:4               // permute edge values
s_waitcnt 0                                        // wait for swizzle operation
v_accvgpr_write_b32 acc38, v5                      // 
v_accvgpr_read_b32 v5, acc39                       // glvw 7 mb 2 tt1 7 r 0
s_nop 1                                            // v_accvgpr read vgpr after write vgpr: 2 wait states
ds_bpermute_b32 v5, v0, v5, offset:4               // permute edge values
s_waitcnt 0                                        // wait for swizzle operation
v_accvgpr_write_b32 acc39, v5                      // 
v_accvgpr_read_b32 v5, acc40                       // glvw 7 mb 2 tt1 8 r 0
s_nop 1                                            // v_accvgpr read vgpr after write vgpr: 2 wait states
ds_bpermute_b32 v5, v0, v5, offset:4               // permute edge values
s_waitcnt 0                                        // wait for swizzle operation
v_accvgpr_write_b32 acc40, v5                      // 
v_accvgpr_read_b32 v5, acc41                       // glvw 7 mb 2 tt1 9 r 0
s_nop 1                                            // v_accvgpr read vgpr after write vgpr: 2 wait states
ds_bpermute_b32 v5, v0, v5, offset:4               // permute edge values
s_waitcnt 0                                        // wait for swizzle operation
v_accvgpr_write_b32 acc41, v5                      // 
v_accvgpr_read_b32 v5, acc42                       // glvw 7 mb 2 tt1 10 r 0
s_nop 1                                            // v_accvgpr read vgpr after write vgpr: 2 wait states
ds_bpermute_b32 v5, v0, v5, offset:4               // permute edge values
s_waitcnt 0                                        // wait for swizzle operation
v_accvgpr_write_b32 acc42, v5                      // 
v_accvgpr_read_b32 v5, acc43                       // glvw 7 mb 2 tt1 11 r 0
s_nop 1                                            // v_accvgpr read vgpr after write vgpr: 2 wait states
ds_bpermute_b32 v5, v0, v5, offset:4               // permute edge values
s_waitcnt 0                                        // wait for swizzle operation
v_accvgpr_write_b32 acc43, v5                      // 
v_accvgpr_read_b32 v5, acc44                       // glvw 7 mb 2 tt1 12 r 0
s_nop 1                                            // v_accvgpr read vgpr after write vgpr: 2 wait states
ds_bpermute_b32 v5, v0, v5, offset:4               // permute edge values
s_waitcnt 0                                        // wait for swizzle operation
v_accvgpr_write_b32 acc44, v5                      // 
v_accvgpr_read_b32 v5, acc45                       // glvw 7 mb 2 tt1 13 r 0
s_nop 1                                            // v_accvgpr read vgpr after write vgpr: 2 wait states
ds_bpermute_b32 v5, v0, v5, offset:4               // permute edge values
s_waitcnt 0                                        // wait for swizzle operation
v_accvgpr_write_b32 acc45, v5                      // 
v_accvgpr_read_b32 v5, acc46                       // glvw 7 mb 2 tt1 14 r 0
s_nop 1                                            // v_accvgpr read vgpr after write vgpr: 2 wait states
ds_bpermute_b32 v5, v0, v5, offset:4               // permute edge values
s_waitcnt 0                                        // wait for swizzle operation
v_accvgpr_write_b32 acc46, v5                      // 
v_accvgpr_read_b32 v5, acc47                       // glvw 7 mb 2 tt1 15 r 0
s_nop 1                                            // v_accvgpr read vgpr after write vgpr: 2 wait states
ds_bpermute_b32 v5, v0, v5, offset:4               // permute edge values
s_waitcnt 0                                        // wait for swizzle operation
v_accvgpr_write_b32 acc47, v5                      // 
s_mov_b64 s[32:33], 0xFFFFFFFFFFFFFFFF             // to restore all threads active
s_or_saveexec_b64 vcc, s[32:33]                    // all threads active
s_branch label_0079                                // done shifting

label_0079: // end shift0


	;; [unrolled: 1-line block ×3, first 2 shown]
/* not-LocalSplitU: global write indices */

/* computeStoreVgprs */
v_lshrrev_b32 v4, 6, v[vgprSerial]                 // v4 = v[vgprSerial] / 64
v_lshrrev_b32 v1, 2, v4                            // v1 = v4 / 4
v_mul_lo_u32 v1, 0x20, v1                          // wave coordination offset 1
v_and_b32 v5, 31, v[vgprSerial]                    // v5 = v[vgprSerial] % 32
_v_add_lshl_u32 v1, v5, v1, 0                      // coordination 1 = vwb *(wave_id1 + tid1)
v_mul_lo_u32 v2, v1, s[sgprStrideC1J]              //  offset 1
v_mul_lo_u32 v3, v1, s[sgprStrideD1J]              //  offset 1
v_and_b32 v0, 63, v[vgprSerial]                    // v0 = v[vgprSerial] % 64
v_lshrrev_b32 v0, 5, v0                            // v0 = v0 / 32
v_lshlrev_b32 v0, 0x2, v0                          // thread0 * continuous_output
v_and_b32 v5, 3, v4                                // v5 = v4 % 4
v_mul_lo_u32 v5, 0x20, v5                          // wave coordination offset 0
_v_add_lshl_u32 v0, v5, v0, 0                      // coordination 0 = vwa *(wave_id0 + tid0)
s_mul_i32 s31, 128, s[sgprWorkGroup0]              // wgp0 * MT0
_v_add_u32 v0, s31, v0                             // coord 0 = (tid0/MI_m)*4 + waveG0*MIB_m + MT0*SG0
s_mul_i32 s31, 96, s[sgprWorkGroup1]               // wgp1 * MT1
_v_add_u32 v1, s31, v1                             // coord 1 = (tid0%MI_m) + waveG1*MIB_n + MT1*SG1
/* Store Remap Local Write address */
v_lshrrev_b32 v5, 8, v[vgprSerial]                 // v5 = v[vgprSerial] / 256
v_and_b32 v4, 255, v[vgprSerial]                   // v4 = v[vgprSerial] % 256
v_mul_lo_u32 v13, 0x20, v5                         // coord1 offset of LDS for each Wave
v_and_b32 v5, 0x1f, v[vgprSerial]                  // coord1 offset of LDS for each thread
_v_add_u32 v5, v13, v5                             // coord1 offset in MacroTile
v_mov_b32 v11, 0x84                                // lds stride = MT0 + PAD
v_mul_lo_u32 v9, v5, v11                           // lds coord1 offset = Col-id* lds stride
v_lshrrev_b32 v10, 6, v4                           // v10 = v4 / 64
v_and_b32 v4, 63, v4                               // v4 = v4 % 64
v_lshrrev_b32 v12, 0x5, v4                         // tid / matrixInstN
v_lshlrev_b32 v12, 0x2, v12                        // lds coord0 offset *= 4 (each thread hold 4 element)
v_mad_u32_u24 v12, 32, v10, v12                    // coord0 += waveCoord0 * wave M shape(blockM*MiM)
_v_add_lshl_u32 v7, v9, v12, 0x2                   // local write C address

/* Store Remap Local Read address */
v_lshrrev_b32 v5, 6, v[vgprSerial]                 // v5 = v[vgprSerial] / 64
v_and_b32 v4, 63, v[vgprSerial]                    // v4 = v[vgprSerial] % 64
v_mul_lo_u32 v13, 0x8, v5                          // coord1 offset of LDS for each Wave
v_lshrrev_b32 v10, 0x5, v4                         // tid / nThreadPerCol
_v_add_u32 v6, v13, v10                            // coord1 offset in MacroTile
v_mul_lo_u32 v9, v6, v11                           // lds coord1 offset = Col-id* lds stride
v_and_b32 v12, 0x1f, v4                            // coord0 offset of LDS for each thread
v_lshlrev_b32 v12, 0x2, v12                        // lds coord0 offset *= gwvw (each thread hold gwvw element)
_v_add_lshl_u32 v8, v9, v12, 0x2                   // local read C address

/* Store Remap global write coord0 and coord1 */
v_lshrrev_b32 v5, 8, v[vgprSerial]                 // v5 = v[vgprSerial] / 256
v_and_b32 v4, 255, v[vgprSerial]                   // v4 = v[vgprSerial] % 256
v_mul_lo_u32 v13, 0x20, v5                         // coord1 offset of global memory for each Wave
v_lshrrev_b32 v5, 6, v4                            // v5 = v4 / 64
v_and_b32 v4, 63, v4                               // v4 = v4 % 64
v_mad_u32_u24 v13, 8, v5, v13                      // waveCoord1 += waveCoord0 * MiN / WaveGroupM
v_lshrrev_b32 v10, 0x5, v4                         // tid / nThreadPerCol
_v_add_u32 v6, v13, v10                            // coord1 offset in MacroTile
s_mul_i32 s32, 0x80, s[sgprWorkGroup0]             // s32 = wg0*MT0
_v_add_co_u32 v4, vcc, s32, v12                    // coord0 = coord0 + wg0 * MT0
s_mul_i32 s33, MT1, s[sgprWorkGroup1]              // <- wg1*MT1
_v_add_co_u32 v5, vcc, s33, v6                     // coord1 = tid1*VW + wg1*MT1

// Skip force waitcnt0
s_barrier //StoreRemap Start


/* not-LocalSplitU: global write */

s_cmpk_eq_u32 s[sgprBeta], 0x0                     // Beta == 0
s_cbranch_scc0 GW_Beta_100                         // Branch if Beta is not zero

s_and_b32 s32, 127, s[sgprSizeI]                   // s32 = s[sgprSizeI] % 128
s_add_u32 s33, -0x1, s[sgprNumWorkGroups0]         // 
s_cmp_ge_u32 s[sgprWorkGroup0], s33                // wg0 >= nwg0-1 ?
s_cselect_b32 s32, s32, 0                          // set rMT0
s_cmpk_gt_u32 s32, 0x0                             // rMT0 > 0
s_cbranch_scc1 GW_B0_E1_91                         // jump if edges required
s_mov_b32 s35, 0x0                                 // STATIC_DIV: divisior=96
s_mul_i32 s34, 0x555, s[sgprSizeJ]                 // tmp1 = dividend * magic hi
s_lshl_b64 s[34:35], s[34:35], 0x10                // left shift 16 bits
s_mul_i32 s33, s[sgprSizeJ], 0x5556                // tmp0 = dividend * magic lo
s_add_u32 s34, s33, s34                            // add lo
s_addc_u32 s35, s35, 0x0                           // add hi
s_lshr_b64 s[34:35], s[34:35], 0x21                // tmp1 = (dividend * magic) << shift
s_mov_b32 s33, s34                                 // quotient
s_mul_i32 s34, s33, 0x60                           // quotient*divisor
s_sub_u32 s32, s[sgprSizeJ], s34                   // rReg = dividend - quotient*divisor
s_add_u32 s33, -0x1, s[sgprNumWorkGroups1]         // 
s_cmp_ge_u32 s[sgprWorkGroup1], s33                // wg1 >= nwg1-1
s_cselect_b32 s32, s32, 0                          // set rMT1
s_cmpk_gt_u32 s32, 0x0                             // rMT1 > 0
s_cbranch_scc1 GW_B0_E1_91                         // jump if edges required
GW_B0_E0_88:

/* edge=0, allocate 2 sgpr. perBatchTmpS=2 perBatchMaskS=0 perElementMaskS=0 elementsPerBatch=4 */
/* optSingleColVgpr=1 optSharedColVgpr=0 optSGPRUsage=BufferLoad_Mask optSrdIncForRow=1 */

/******************************************/
/* Global Write Alpha Batch #0 (d1,d0,vc1,vc0) = */
/*    (0,0,0,0:vw4); (0,1,0,0:vw4); (0,2,0,0:vw4); (0,3,0,0:vw4) */
/******************************************/

/* calc coords, apply mask, and issue loads (if necessary) */
/* (d1,vc1,d0,vc0)=(0,0,0,0) */
/* (d1,vc1,d0,vc0)=(0,0,1,0) */
	;; [unrolled: 1-line block ×4, first 2 shown]
_v_add_lshl_u32 v9, v3, v0, 0x2                    // optSingleColVgpr scaleToBpe: sharedAddrVgpr <- cinRowPtr + coord0, scaled by BPE. BSHERE:coord0=0, coord0Vgpr=0
v_accvgpr_read_b32 v[vgprValuC+16], acc0 // copy acc to vreg[0]
v_accvgpr_read_b32 v[vgprValuC+17], acc1 // copy acc to vreg[1]
v_accvgpr_read_b32 v[vgprValuC+18], acc2 // copy acc to vreg[2]
v_accvgpr_read_b32 v[vgprValuC+19], acc3 // copy acc to vreg[3]
v_accvgpr_read_b32 v[vgprValuC+20], acc4 // copy acc to vreg[4]
v_accvgpr_read_b32 v[vgprValuC+21], acc5 // copy acc to vreg[5]
v_accvgpr_read_b32 v[vgprValuC+22], acc6 // copy acc to vreg[6]
v_accvgpr_read_b32 v[vgprValuC+23], acc7 // copy acc to vreg[7]
v_accvgpr_read_b32 v[vgprValuC+24], acc8 // copy acc to vreg[8]
v_accvgpr_read_b32 v[vgprValuC+25], acc9 // copy acc to vreg[9]
v_accvgpr_read_b32 v[vgprValuC+26], acc10 // copy acc to vreg[10]
v_accvgpr_read_b32 v[vgprValuC+27], acc11 // copy acc to vreg[11]
v_accvgpr_read_b32 v[vgprValuC+28], acc12 // copy acc to vreg[12]
v_accvgpr_read_b32 v[vgprValuC+29], acc13 // copy acc to vreg[13]
v_accvgpr_read_b32 v[vgprValuC+30], acc14 // copy acc to vreg[14]
v_accvgpr_read_b32 v[vgprValuC+31], acc15 // copy acc to vreg[15]
s_nop 1                                            // 2 wait states required before reading vgpr

/* rC *= alpha batchElements=[(0, 0, 0, 0), (0, 1, 0, 0), (0, 2, 0, 0), (0, 3, 0, 0)] */
v_mul_lo_u32 v[vgprValuC+16], s[sgprAlpha], v[vgprValuC+16] // *= alpha
v_mul_lo_u32 v[vgprValuC+17], s[sgprAlpha], v[vgprValuC+17] // *= alpha
	;; [unrolled: 1-line block ×16, first 2 shown]

/* apply mask, calc new C and issue writes */
_ds_store_b128 v7, v[16:19], offset:0              // storeRemap lw
_ds_store_b128 v7, v[20:23], offset:32             // storeRemap lw
_ds_store_b128 v7, v[24:27], offset:64             // storeRemap lw
	;; [unrolled: 1-line block ×3, first 2 shown]

/* Handle local read and global write */
s_waitcnt lgkmcnt(0)                               // wait for LDS write
s_barrier //wait all lds write finished

_ds_load_b128 v[16:19], v8, offset:0               // storeRemap lr
_ds_load_b128 v[20:23], v8, offset:1056            // storeRemap lr
_ds_load_b128 v[24:27], v8, offset:2112            // storeRemap lr
	;; [unrolled: 1-line block ×3, first 2 shown]

v_mov_b32 v13, v6                                  // coord1
v_mul_lo_u32 v13, v13, s[sgprStrideD1J]            // coord1 offset =  coord1 * StrideD
_v_add_lshl_u32 v13, v13, v4, 0x2                  // global write D address
s_waitcnt lgkmcnt(3)                               // wait for LDS read
_buffer_store_b128 v[16:19], v13, s[sgprSrdD:sgprSrdD+3], 0, offen, offset:0 // store D
_v_add_u32 v13, v6, 2                              // coord1 += nColPerLoad
v_mul_lo_u32 v13, v13, s[sgprStrideD1J]            // coord1 offset =  coord1 * StrideD
_v_add_lshl_u32 v13, v13, v4, 0x2                  // global write D address
s_waitcnt lgkmcnt(2)                               // wait for LDS read
_buffer_store_b128 v[20:23], v13, s[sgprSrdD:sgprSrdD+3], 0, offen, offset:0 // store D
_v_add_u32 v13, v6, 4                              // coord1 += nColPerLoad
	;; [unrolled: 5-line block ×3, first 2 shown]
v_mul_lo_u32 v13, v13, s[sgprStrideD1J]            // coord1 offset =  coord1 * StrideD
_v_add_lshl_u32 v13, v13, v4, 0x2                  // global write D address
s_waitcnt lgkmcnt(0)                               // wait for LDS read
_buffer_store_b128 v[28:31], v13, s[sgprSrdD:sgprSrdD+3], 0, offen, offset:0 // store D

s_barrier //wait all lds read finished
s_nop 0                                            // 1 wait state required when next inst writes vgprs held by previous dwordx4 store inst
/* optSingleColVgpr=1 optSharedColVgpr=0 optSGPRUsage=BufferLoad_Mask optSrdIncForRow=1 */

/******************************************/
/* Global Write Alpha Batch #1 (d1,d0,vc1,vc0) = */
/*    (1,0,0,0:vw4); (1,1,0,0:vw4); (1,2,0,0:vw4); (1,3,0,0:vw4) */
/******************************************/

/* calc coords, apply mask, and issue loads (if necessary) */
/* (d1,vc1,d0,vc0)=(1,0,0,0) */
/* (d1,vc1,d0,vc0)=(1,0,1,0) */
	;; [unrolled: 1-line block ×4, first 2 shown]
v_accvgpr_read_b32 v[vgprValuC+16], acc16 // copy acc to vreg[16]
v_accvgpr_read_b32 v[vgprValuC+17], acc17 // copy acc to vreg[17]
v_accvgpr_read_b32 v[vgprValuC+18], acc18 // copy acc to vreg[18]
v_accvgpr_read_b32 v[vgprValuC+19], acc19 // copy acc to vreg[19]
v_accvgpr_read_b32 v[vgprValuC+20], acc20 // copy acc to vreg[20]
v_accvgpr_read_b32 v[vgprValuC+21], acc21 // copy acc to vreg[21]
v_accvgpr_read_b32 v[vgprValuC+22], acc22 // copy acc to vreg[22]
v_accvgpr_read_b32 v[vgprValuC+23], acc23 // copy acc to vreg[23]
v_accvgpr_read_b32 v[vgprValuC+24], acc24 // copy acc to vreg[24]
v_accvgpr_read_b32 v[vgprValuC+25], acc25 // copy acc to vreg[25]
v_accvgpr_read_b32 v[vgprValuC+26], acc26 // copy acc to vreg[26]
v_accvgpr_read_b32 v[vgprValuC+27], acc27 // copy acc to vreg[27]
v_accvgpr_read_b32 v[vgprValuC+28], acc28 // copy acc to vreg[28]
v_accvgpr_read_b32 v[vgprValuC+29], acc29 // copy acc to vreg[29]
v_accvgpr_read_b32 v[vgprValuC+30], acc30 // copy acc to vreg[30]
v_accvgpr_read_b32 v[vgprValuC+31], acc31 // copy acc to vreg[31]
s_nop 1                                            // 2 wait states required before reading vgpr

/* rC *= alpha batchElements=[(1, 0, 0, 0), (1, 1, 0, 0), (1, 2, 0, 0), (1, 3, 0, 0)] */
v_mul_lo_u32 v[vgprValuC+16], s[sgprAlpha], v[vgprValuC+16] // *= alpha
v_mul_lo_u32 v[vgprValuC+17], s[sgprAlpha], v[vgprValuC+17] // *= alpha
	;; [unrolled: 1-line block ×16, first 2 shown]

/* apply mask, calc new C and issue writes */

/* StoreRemap: shift coord1 address */
s_mul_i32 s32, s[sgprStrideD1J], 128               // scale StrideD *= numRows(32) * bpe
s_add_u32  s[sgprSrdD+0], s[sgprSrdD+0], s32       // incToNextRow: gra SRD += inc(lower)
s_addc_u32  s[sgprSrdD+1], s[sgprSrdD+1], 0        // incToNextRow: gra SRD += inc(upper)
v_mov_b32 v10, 32                                  // set shift rows
_v_add_u32 v5, v5, v10                             // shift storeRemap coord1
_ds_store_b128 v7, v[16:19], offset:0              // storeRemap lw
_ds_store_b128 v7, v[20:23], offset:32             // storeRemap lw
_ds_store_b128 v7, v[24:27], offset:64             // storeRemap lw
	;; [unrolled: 1-line block ×3, first 2 shown]

/* Handle local read and global write */
s_waitcnt lgkmcnt(0)                               // wait for LDS write
s_barrier //wait all lds write finished

_ds_load_b128 v[16:19], v8, offset:0               // storeRemap lr
_ds_load_b128 v[20:23], v8, offset:1056            // storeRemap lr
_ds_load_b128 v[24:27], v8, offset:2112            // storeRemap lr
	;; [unrolled: 1-line block ×3, first 2 shown]

v_mov_b32 v13, v6                                  // coord1
v_mul_lo_u32 v13, v13, s[sgprStrideD1J]            // coord1 offset =  coord1 * StrideD
_v_add_lshl_u32 v13, v13, v4, 0x2                  // global write D address
s_waitcnt lgkmcnt(3)                               // wait for LDS read
_buffer_store_b128 v[16:19], v13, s[sgprSrdD:sgprSrdD+3], 0, offen, offset:0 // store D
_v_add_u32 v13, v6, 2                              // coord1 += nColPerLoad
v_mul_lo_u32 v13, v13, s[sgprStrideD1J]            // coord1 offset =  coord1 * StrideD
_v_add_lshl_u32 v13, v13, v4, 0x2                  // global write D address
s_waitcnt lgkmcnt(2)                               // wait for LDS read
_buffer_store_b128 v[20:23], v13, s[sgprSrdD:sgprSrdD+3], 0, offen, offset:0 // store D
_v_add_u32 v13, v6, 4                              // coord1 += nColPerLoad
	;; [unrolled: 5-line block ×3, first 2 shown]
v_mul_lo_u32 v13, v13, s[sgprStrideD1J]            // coord1 offset =  coord1 * StrideD
_v_add_lshl_u32 v13, v13, v4, 0x2                  // global write D address
s_waitcnt lgkmcnt(0)                               // wait for LDS read
_buffer_store_b128 v[28:31], v13, s[sgprSrdD:sgprSrdD+3], 0, offen, offset:0 // store D

s_barrier //wait all lds read finished
s_nop 0                                            // 1 wait state required when next inst writes vgprs held by previous dwordx4 store inst
/* optSingleColVgpr=1 optSharedColVgpr=0 optSGPRUsage=BufferLoad_Mask optSrdIncForRow=1 */

/******************************************/
/* Global Write Alpha Batch #2 (d1,d0,vc1,vc0) = */
/*    (2,0,0,0:vw4); (2,1,0,0:vw4); (2,2,0,0:vw4); (2,3,0,0:vw4) */
/******************************************/

/* calc coords, apply mask, and issue loads (if necessary) */
/* (d1,vc1,d0,vc0)=(2,0,0,0) */
/* (d1,vc1,d0,vc0)=(2,0,1,0) */
	;; [unrolled: 1-line block ×4, first 2 shown]
v_accvgpr_read_b32 v[vgprValuC+16], acc32 // copy acc to vreg[32]
v_accvgpr_read_b32 v[vgprValuC+17], acc33 // copy acc to vreg[33]
v_accvgpr_read_b32 v[vgprValuC+18], acc34 // copy acc to vreg[34]
v_accvgpr_read_b32 v[vgprValuC+19], acc35 // copy acc to vreg[35]
v_accvgpr_read_b32 v[vgprValuC+20], acc36 // copy acc to vreg[36]
v_accvgpr_read_b32 v[vgprValuC+21], acc37 // copy acc to vreg[37]
v_accvgpr_read_b32 v[vgprValuC+22], acc38 // copy acc to vreg[38]
v_accvgpr_read_b32 v[vgprValuC+23], acc39 // copy acc to vreg[39]
v_accvgpr_read_b32 v[vgprValuC+24], acc40 // copy acc to vreg[40]
v_accvgpr_read_b32 v[vgprValuC+25], acc41 // copy acc to vreg[41]
v_accvgpr_read_b32 v[vgprValuC+26], acc42 // copy acc to vreg[42]
v_accvgpr_read_b32 v[vgprValuC+27], acc43 // copy acc to vreg[43]
v_accvgpr_read_b32 v[vgprValuC+28], acc44 // copy acc to vreg[44]
v_accvgpr_read_b32 v[vgprValuC+29], acc45 // copy acc to vreg[45]
v_accvgpr_read_b32 v[vgprValuC+30], acc46 // copy acc to vreg[46]
v_accvgpr_read_b32 v[vgprValuC+31], acc47 // copy acc to vreg[47]
s_nop 1                                            // 2 wait states required before reading vgpr

/* rC *= alpha batchElements=[(2, 0, 0, 0), (2, 1, 0, 0), (2, 2, 0, 0), (2, 3, 0, 0)] */
v_mul_lo_u32 v[vgprValuC+16], s[sgprAlpha], v[vgprValuC+16] // *= alpha
v_mul_lo_u32 v[vgprValuC+17], s[sgprAlpha], v[vgprValuC+17] // *= alpha
	;; [unrolled: 1-line block ×16, first 2 shown]

/* apply mask, calc new C and issue writes */

/* StoreRemap: shift coord1 address */
s_mul_i32 s32, s[sgprStrideD1J], 128               // scale StrideD *= numRows(32) * bpe
s_add_u32  s[sgprSrdD+0], s[sgprSrdD+0], s32       // incToNextRow: gra SRD += inc(lower)
s_addc_u32  s[sgprSrdD+1], s[sgprSrdD+1], 0        // incToNextRow: gra SRD += inc(upper)
v_mov_b32 v10, 32                                  // set shift rows
_v_add_u32 v5, v5, v10                             // shift storeRemap coord1
_ds_store_b128 v7, v[16:19], offset:0              // storeRemap lw
_ds_store_b128 v7, v[20:23], offset:32             // storeRemap lw
_ds_store_b128 v7, v[24:27], offset:64             // storeRemap lw
	;; [unrolled: 1-line block ×3, first 2 shown]

/* Handle local read and global write */
s_waitcnt lgkmcnt(0)                               // wait for LDS write
s_barrier //wait all lds write finished

_ds_load_b128 v[16:19], v8, offset:0               // storeRemap lr
_ds_load_b128 v[20:23], v8, offset:1056            // storeRemap lr
_ds_load_b128 v[24:27], v8, offset:2112            // storeRemap lr
	;; [unrolled: 1-line block ×3, first 2 shown]

v_mov_b32 v13, v6                                  // coord1
v_mul_lo_u32 v13, v13, s[sgprStrideD1J]            // coord1 offset =  coord1 * StrideD
_v_add_lshl_u32 v13, v13, v4, 0x2                  // global write D address
s_waitcnt lgkmcnt(3)                               // wait for LDS read
_buffer_store_b128 v[16:19], v13, s[sgprSrdD:sgprSrdD+3], 0, offen, offset:0 // store D
_v_add_u32 v13, v6, 2                              // coord1 += nColPerLoad
v_mul_lo_u32 v13, v13, s[sgprStrideD1J]            // coord1 offset =  coord1 * StrideD
_v_add_lshl_u32 v13, v13, v4, 0x2                  // global write D address
s_waitcnt lgkmcnt(2)                               // wait for LDS read
_buffer_store_b128 v[20:23], v13, s[sgprSrdD:sgprSrdD+3], 0, offen, offset:0 // store D
_v_add_u32 v13, v6, 4                              // coord1 += nColPerLoad
	;; [unrolled: 5-line block ×3, first 2 shown]
v_mul_lo_u32 v13, v13, s[sgprStrideD1J]            // coord1 offset =  coord1 * StrideD
_v_add_lshl_u32 v13, v13, v4, 0x2                  // global write D address
s_waitcnt lgkmcnt(0)                               // wait for LDS read
_buffer_store_b128 v[28:31], v13, s[sgprSrdD:sgprSrdD+3], 0, offen, offset:0 // store D

s_barrier //wait all lds read finished
s_nop 0                                            // 1 wait state required when next inst writes vgprs held by previous dwordx4 store inst
s_branch label_GW_End_99                           // jump to end
GW_B0_E1_91:

/* edge=0, allocate 6 sgpr. perBatchTmpS=4 perBatchMaskS=2 perElementMaskS=0 elementsPerBatch=4 */
/* optSingleColVgpr=0 optSharedColVgpr=0 optSGPRUsage=BufferLoad_Edge_Mask optSrdIncForRow=1 */

/******************************************/
/* Global Write Alpha Edge Batch #0 (d1,d0,vc1,vc0) = */
/*    (0,0,0,0:vw4); (0,1,0,0:vw4); (0,2,0,0:vw4); (0,3,0,0:vw4) */
/******************************************/

/* calc coords, apply mask, and issue loads (if necessary) */
/* (d1,vc1,d0,vc0)=(0,0,0,0) */
_v_add_lshl_u32 v9, v3, v0, 0x2                    // scaleToBpe: accumulate d0 lower and *= bpe into Cin addr
/* (d1,vc1,d0,vc0)=(0,0,1,0) */
_v_add_co_u32 v10, vcc, v0, 8                      // coord0.1: coord0 += d0*sg0*VW + vc0
_v_add_lshl_u32 v16, v3, v10, 0x2                  // scaleToBpe: accumulate d0 lower and *= bpe into Cin addr
/* (d1,vc1,d0,vc0)=(0,0,2,0) */
_v_add_co_u32 v10, vcc, v0, 16                     // coord0.1: coord0 += d0*sg0*VW + vc0
_v_add_lshl_u32 v17, v3, v10, 0x2                  // scaleToBpe: accumulate d0 lower and *= bpe into Cin addr
/* (d1,vc1,d0,vc0)=(0,0,3,0) */
_v_add_co_u32 v10, vcc, v0, 24                     // coord0.1: coord0 += d0*sg0*VW + vc0
_v_add_lshl_u32 v18, v3, v10, 0x2                  // scaleToBpe: accumulate d0 lower and *= bpe into Cin addr
v_accvgpr_read_b32 v[vgprValuC+12], acc0 // copy acc to vreg[0]
v_accvgpr_read_b32 v[vgprValuC+13], acc1 // copy acc to vreg[1]
v_accvgpr_read_b32 v[vgprValuC+14], acc2 // copy acc to vreg[2]
v_accvgpr_read_b32 v[vgprValuC+15], acc3 // copy acc to vreg[3]
v_accvgpr_read_b32 v[vgprValuC+20], acc4 // copy acc to vreg[4]
v_accvgpr_read_b32 v[vgprValuC+21], acc5 // copy acc to vreg[5]
v_accvgpr_read_b32 v[vgprValuC+22], acc6 // copy acc to vreg[6]
v_accvgpr_read_b32 v[vgprValuC+23], acc7 // copy acc to vreg[7]
v_accvgpr_read_b32 v[vgprValuC+24], acc8 // copy acc to vreg[8]
v_accvgpr_read_b32 v[vgprValuC+25], acc9 // copy acc to vreg[9]
v_accvgpr_read_b32 v[vgprValuC+26], acc10 // copy acc to vreg[10]
v_accvgpr_read_b32 v[vgprValuC+27], acc11 // copy acc to vreg[11]
v_accvgpr_read_b32 v[vgprValuC+28], acc12 // copy acc to vreg[12]
v_accvgpr_read_b32 v[vgprValuC+29], acc13 // copy acc to vreg[13]
v_accvgpr_read_b32 v[vgprValuC+30], acc14 // copy acc to vreg[14]
v_accvgpr_read_b32 v[vgprValuC+31], acc15 // copy acc to vreg[15]
s_nop 1                                            // 2 wait states required before reading vgpr

/* rC *= alpha batchElements=[(0, 0, 0, 0), (0, 1, 0, 0), (0, 2, 0, 0), (0, 3, 0, 0)] */
v_mul_lo_u32 v[vgprValuC+12], s[sgprAlpha], v[vgprValuC+12] // *= alpha
v_mul_lo_u32 v[vgprValuC+13], s[sgprAlpha], v[vgprValuC+13] // *= alpha
	;; [unrolled: 1-line block ×16, first 2 shown]

/* apply mask, calc new C and issue writes */
_ds_store_b128 v7, v[12:15], offset:0              // storeRemap lw
_ds_store_b128 v7, v[20:23], offset:32             // storeRemap lw
_ds_store_b128 v7, v[24:27], offset:64             // storeRemap lw
	;; [unrolled: 1-line block ×3, first 2 shown]

/* Handle local read and global write */
s_waitcnt lgkmcnt(0)                               // wait for LDS write
s_barrier //wait all lds write finished

_ds_load_b128 v[12:15], v8, offset:0               // storeRemap lr
_ds_load_b128 v[16:19], v8, offset:1056            // storeRemap lr
_ds_load_b128 v[20:23], v8, offset:2112            // storeRemap lr
	;; [unrolled: 1-line block ×3, first 2 shown]

s_waitcnt lgkmcnt(3)                               // wait for LDS read
_v_add_u32 v11, v5, 0                              // coord1 += nColPerLoad
_v_add_u32 v10, v4, 0                              // coord0 += element index of load vector
_v_add_u32 v9, v6, 0                               // offset coord1 += nColPerLoad
v_cmp_lt_u32 s[52:53], v10, s[sgprSizeI]           // coord0 < size0
v_cmp_lt_u32 s[54:55], v11, s[sgprSizeJ]           // coord1 < size1
s_and_b64 s[54:55], s[52:53], s[54:55]             // in0 && in1
v_mul_lo_u32 v9, v9, s[sgprStrideD1J]              // coord1 element offset =  coord1 * StrideD
_v_add_lshl_u32 v9, v9, v10, 0x2                   // scale to BPE
v_cndmask_b32 v9, -1, v9, s[54:55]                 // clip if OOB. offset
_buffer_store_b128 v[12:15], v9, s[sgprSrdD:sgprSrdD+3], 0, offen, offset:0 // store D
s_waitcnt lgkmcnt(2)                               // wait for LDS read
_v_add_u32 v11, v5, 2                              // coord1 += nColPerLoad
_v_add_u32 v10, v4, 0                              // coord0 += element index of load vector
_v_add_u32 v9, v6, 2                               // offset coord1 += nColPerLoad
v_cmp_lt_u32 s[52:53], v10, s[sgprSizeI]           // coord0 < size0
v_cmp_lt_u32 s[54:55], v11, s[sgprSizeJ]           // coord1 < size1
s_and_b64 s[54:55], s[52:53], s[54:55]             // in0 && in1
v_mul_lo_u32 v9, v9, s[sgprStrideD1J]              // coord1 element offset =  coord1 * StrideD
_v_add_lshl_u32 v9, v9, v10, 0x2                   // scale to BPE
v_cndmask_b32 v9, -1, v9, s[54:55]                 // clip if OOB. offset
_buffer_store_b128 v[16:19], v9, s[sgprSrdD:sgprSrdD+3], 0, offen, offset:0 // store D
	;; [unrolled: 11-line block ×4, first 2 shown]

s_barrier //wait all lds read finished
s_nop 0                                            // 1 wait state required when next inst writes vgprs held by previous dwordx4 store inst
/* optSingleColVgpr=0 optSharedColVgpr=0 optSGPRUsage=BufferLoad_Edge_Mask optSrdIncForRow=1 */

/******************************************/
/* Global Write Alpha Edge Batch #1 (d1,d0,vc1,vc0) = */
/*    (1,0,0,0:vw4); (1,1,0,0:vw4); (1,2,0,0:vw4); (1,3,0,0:vw4) */
/******************************************/

/* calc coords, apply mask, and issue loads (if necessary) */
/* (d1,vc1,d0,vc0)=(1,0,0,0) */
_v_add_co_u32 v1, vcc, v1, 32                      // coord1.1: coord1Vgpr += d1*sg1*VW + vc1
_v_add_lshl_u32 v9, v3, v0, 0x2                    // scaleToBpe: accumulate d0 lower and *= bpe into Cin addr
/* (d1,vc1,d0,vc0)=(1,0,1,0) */
_v_add_co_u32 v10, vcc, v0, 8                      // coord0.1: coord0 += d0*sg0*VW + vc0
_v_add_lshl_u32 v16, v3, v10, 0x2                  // scaleToBpe: accumulate d0 lower and *= bpe into Cin addr
/* (d1,vc1,d0,vc0)=(1,0,2,0) */
_v_add_co_u32 v10, vcc, v0, 16                     // coord0.1: coord0 += d0*sg0*VW + vc0
_v_add_lshl_u32 v17, v3, v10, 0x2                  // scaleToBpe: accumulate d0 lower and *= bpe into Cin addr
/* (d1,vc1,d0,vc0)=(1,0,3,0) */
_v_add_co_u32 v10, vcc, v0, 24                     // coord0.1: coord0 += d0*sg0*VW + vc0
_v_add_lshl_u32 v18, v3, v10, 0x2                  // scaleToBpe: accumulate d0 lower and *= bpe into Cin addr
v_accvgpr_read_b32 v[vgprValuC+12], acc16 // copy acc to vreg[16]
v_accvgpr_read_b32 v[vgprValuC+13], acc17 // copy acc to vreg[17]
v_accvgpr_read_b32 v[vgprValuC+14], acc18 // copy acc to vreg[18]
v_accvgpr_read_b32 v[vgprValuC+15], acc19 // copy acc to vreg[19]
v_accvgpr_read_b32 v[vgprValuC+20], acc20 // copy acc to vreg[20]
v_accvgpr_read_b32 v[vgprValuC+21], acc21 // copy acc to vreg[21]
v_accvgpr_read_b32 v[vgprValuC+22], acc22 // copy acc to vreg[22]
v_accvgpr_read_b32 v[vgprValuC+23], acc23 // copy acc to vreg[23]
v_accvgpr_read_b32 v[vgprValuC+24], acc24 // copy acc to vreg[24]
v_accvgpr_read_b32 v[vgprValuC+25], acc25 // copy acc to vreg[25]
v_accvgpr_read_b32 v[vgprValuC+26], acc26 // copy acc to vreg[26]
v_accvgpr_read_b32 v[vgprValuC+27], acc27 // copy acc to vreg[27]
v_accvgpr_read_b32 v[vgprValuC+28], acc28 // copy acc to vreg[28]
v_accvgpr_read_b32 v[vgprValuC+29], acc29 // copy acc to vreg[29]
v_accvgpr_read_b32 v[vgprValuC+30], acc30 // copy acc to vreg[30]
v_accvgpr_read_b32 v[vgprValuC+31], acc31 // copy acc to vreg[31]
s_nop 1                                            // 2 wait states required before reading vgpr

/* rC *= alpha batchElements=[(1, 0, 0, 0), (1, 1, 0, 0), (1, 2, 0, 0), (1, 3, 0, 0)] */
v_mul_lo_u32 v[vgprValuC+12], s[sgprAlpha], v[vgprValuC+12] // *= alpha
v_mul_lo_u32 v[vgprValuC+13], s[sgprAlpha], v[vgprValuC+13] // *= alpha
	;; [unrolled: 1-line block ×16, first 2 shown]

/* apply mask, calc new C and issue writes */

/* StoreRemap: shift coord1 address */
s_mul_i32 s52, s[sgprStrideD1J], 128               // scale StrideD *= numRows(32) * bpe
s_add_u32  s[sgprSrdD+0], s[sgprSrdD+0], s52       // incToNextRow: gra SRD += inc(lower)
s_addc_u32  s[sgprSrdD+1], s[sgprSrdD+1], 0        // incToNextRow: gra SRD += inc(upper)
v_mov_b32 v10, 32                                  // set shift rows
_v_add_u32 v5, v5, v10                             // shift storeRemap coord1
_ds_store_b128 v7, v[12:15], offset:0              // storeRemap lw
_ds_store_b128 v7, v[20:23], offset:32             // storeRemap lw
_ds_store_b128 v7, v[24:27], offset:64             // storeRemap lw
_ds_store_b128 v7, v[28:31], offset:96             // storeRemap lw

/* Handle local read and global write */
s_waitcnt lgkmcnt(0)                               // wait for LDS write
s_barrier //wait all lds write finished

_ds_load_b128 v[12:15], v8, offset:0               // storeRemap lr
_ds_load_b128 v[16:19], v8, offset:1056            // storeRemap lr
_ds_load_b128 v[20:23], v8, offset:2112            // storeRemap lr
	;; [unrolled: 1-line block ×3, first 2 shown]

s_waitcnt lgkmcnt(3)                               // wait for LDS read
_v_add_u32 v11, v5, 0                              // coord1 += nColPerLoad
_v_add_u32 v10, v4, 0                              // coord0 += element index of load vector
_v_add_u32 v9, v6, 0                               // offset coord1 += nColPerLoad
v_cmp_lt_u32 s[52:53], v10, s[sgprSizeI]           // coord0 < size0
v_cmp_lt_u32 s[54:55], v11, s[sgprSizeJ]           // coord1 < size1
s_and_b64 s[54:55], s[52:53], s[54:55]             // in0 && in1
v_mul_lo_u32 v9, v9, s[sgprStrideD1J]              // coord1 element offset =  coord1 * StrideD
_v_add_lshl_u32 v9, v9, v10, 0x2                   // scale to BPE
v_cndmask_b32 v9, -1, v9, s[54:55]                 // clip if OOB. offset
_buffer_store_b128 v[12:15], v9, s[sgprSrdD:sgprSrdD+3], 0, offen, offset:0 // store D
s_waitcnt lgkmcnt(2)                               // wait for LDS read
_v_add_u32 v11, v5, 2                              // coord1 += nColPerLoad
_v_add_u32 v10, v4, 0                              // coord0 += element index of load vector
_v_add_u32 v9, v6, 2                               // offset coord1 += nColPerLoad
v_cmp_lt_u32 s[52:53], v10, s[sgprSizeI]           // coord0 < size0
v_cmp_lt_u32 s[54:55], v11, s[sgprSizeJ]           // coord1 < size1
s_and_b64 s[54:55], s[52:53], s[54:55]             // in0 && in1
v_mul_lo_u32 v9, v9, s[sgprStrideD1J]              // coord1 element offset =  coord1 * StrideD
_v_add_lshl_u32 v9, v9, v10, 0x2                   // scale to BPE
v_cndmask_b32 v9, -1, v9, s[54:55]                 // clip if OOB. offset
_buffer_store_b128 v[16:19], v9, s[sgprSrdD:sgprSrdD+3], 0, offen, offset:0 // store D
	;; [unrolled: 11-line block ×4, first 2 shown]

s_barrier //wait all lds read finished
s_nop 0                                            // 1 wait state required when next inst writes vgprs held by previous dwordx4 store inst
/* optSingleColVgpr=0 optSharedColVgpr=0 optSGPRUsage=BufferLoad_Edge_Mask optSrdIncForRow=1 */

/******************************************/
/* Global Write Alpha Edge Batch #2 (d1,d0,vc1,vc0) = */
/*    (2,0,0,0:vw4); (2,1,0,0:vw4); (2,2,0,0:vw4); (2,3,0,0:vw4) */
/******************************************/

/* calc coords, apply mask, and issue loads (if necessary) */
/* (d1,vc1,d0,vc0)=(2,0,0,0) */
_v_add_co_u32 v1, vcc, v1, 32                      // coord1.1: coord1Vgpr += d1*sg1*VW + vc1
_v_add_lshl_u32 v9, v3, v0, 0x2                    // scaleToBpe: accumulate d0 lower and *= bpe into Cin addr
/* (d1,vc1,d0,vc0)=(2,0,1,0) */
_v_add_co_u32 v10, vcc, v0, 8                      // coord0.1: coord0 += d0*sg0*VW + vc0
_v_add_lshl_u32 v16, v3, v10, 0x2                  // scaleToBpe: accumulate d0 lower and *= bpe into Cin addr
/* (d1,vc1,d0,vc0)=(2,0,2,0) */
_v_add_co_u32 v10, vcc, v0, 16                     // coord0.1: coord0 += d0*sg0*VW + vc0
_v_add_lshl_u32 v17, v3, v10, 0x2                  // scaleToBpe: accumulate d0 lower and *= bpe into Cin addr
/* (d1,vc1,d0,vc0)=(2,0,3,0) */
_v_add_co_u32 v10, vcc, v0, 24                     // coord0.1: coord0 += d0*sg0*VW + vc0
_v_add_lshl_u32 v18, v3, v10, 0x2                  // scaleToBpe: accumulate d0 lower and *= bpe into Cin addr
v_accvgpr_read_b32 v[vgprValuC+12], acc32 // copy acc to vreg[32]
v_accvgpr_read_b32 v[vgprValuC+13], acc33 // copy acc to vreg[33]
v_accvgpr_read_b32 v[vgprValuC+14], acc34 // copy acc to vreg[34]
v_accvgpr_read_b32 v[vgprValuC+15], acc35 // copy acc to vreg[35]
v_accvgpr_read_b32 v[vgprValuC+20], acc36 // copy acc to vreg[36]
v_accvgpr_read_b32 v[vgprValuC+21], acc37 // copy acc to vreg[37]
v_accvgpr_read_b32 v[vgprValuC+22], acc38 // copy acc to vreg[38]
v_accvgpr_read_b32 v[vgprValuC+23], acc39 // copy acc to vreg[39]
v_accvgpr_read_b32 v[vgprValuC+24], acc40 // copy acc to vreg[40]
v_accvgpr_read_b32 v[vgprValuC+25], acc41 // copy acc to vreg[41]
v_accvgpr_read_b32 v[vgprValuC+26], acc42 // copy acc to vreg[42]
v_accvgpr_read_b32 v[vgprValuC+27], acc43 // copy acc to vreg[43]
v_accvgpr_read_b32 v[vgprValuC+28], acc44 // copy acc to vreg[44]
v_accvgpr_read_b32 v[vgprValuC+29], acc45 // copy acc to vreg[45]
v_accvgpr_read_b32 v[vgprValuC+30], acc46 // copy acc to vreg[46]
v_accvgpr_read_b32 v[vgprValuC+31], acc47 // copy acc to vreg[47]
s_nop 1                                            // 2 wait states required before reading vgpr

/* rC *= alpha batchElements=[(2, 0, 0, 0), (2, 1, 0, 0), (2, 2, 0, 0), (2, 3, 0, 0)] */
v_mul_lo_u32 v[vgprValuC+12], s[sgprAlpha], v[vgprValuC+12] // *= alpha
v_mul_lo_u32 v[vgprValuC+13], s[sgprAlpha], v[vgprValuC+13] // *= alpha
	;; [unrolled: 1-line block ×16, first 2 shown]

/* apply mask, calc new C and issue writes */

/* StoreRemap: shift coord1 address */
s_mul_i32 s52, s[sgprStrideD1J], 128               // scale StrideD *= numRows(32) * bpe
s_add_u32  s[sgprSrdD+0], s[sgprSrdD+0], s52       // incToNextRow: gra SRD += inc(lower)
s_addc_u32  s[sgprSrdD+1], s[sgprSrdD+1], 0        // incToNextRow: gra SRD += inc(upper)
v_mov_b32 v10, 32                                  // set shift rows
_v_add_u32 v5, v5, v10                             // shift storeRemap coord1
_ds_store_b128 v7, v[12:15], offset:0              // storeRemap lw
_ds_store_b128 v7, v[20:23], offset:32             // storeRemap lw
_ds_store_b128 v7, v[24:27], offset:64             // storeRemap lw
	;; [unrolled: 1-line block ×3, first 2 shown]

/* Handle local read and global write */
s_waitcnt lgkmcnt(0)                               // wait for LDS write
s_barrier //wait all lds write finished

_ds_load_b128 v[12:15], v8, offset:0               // storeRemap lr
_ds_load_b128 v[16:19], v8, offset:1056            // storeRemap lr
_ds_load_b128 v[20:23], v8, offset:2112            // storeRemap lr
	;; [unrolled: 1-line block ×3, first 2 shown]

s_waitcnt lgkmcnt(3)                               // wait for LDS read
_v_add_u32 v11, v5, 0                              // coord1 += nColPerLoad
_v_add_u32 v10, v4, 0                              // coord0 += element index of load vector
_v_add_u32 v9, v6, 0                               // offset coord1 += nColPerLoad
v_cmp_lt_u32 s[52:53], v10, s[sgprSizeI]           // coord0 < size0
v_cmp_lt_u32 s[54:55], v11, s[sgprSizeJ]           // coord1 < size1
s_and_b64 s[54:55], s[52:53], s[54:55]             // in0 && in1
v_mul_lo_u32 v9, v9, s[sgprStrideD1J]              // coord1 element offset =  coord1 * StrideD
_v_add_lshl_u32 v9, v9, v10, 0x2                   // scale to BPE
v_cndmask_b32 v9, -1, v9, s[54:55]                 // clip if OOB. offset
_buffer_store_b128 v[12:15], v9, s[sgprSrdD:sgprSrdD+3], 0, offen, offset:0 // store D
s_waitcnt lgkmcnt(2)                               // wait for LDS read
_v_add_u32 v11, v5, 2                              // coord1 += nColPerLoad
_v_add_u32 v10, v4, 0                              // coord0 += element index of load vector
_v_add_u32 v9, v6, 2                               // offset coord1 += nColPerLoad
v_cmp_lt_u32 s[52:53], v10, s[sgprSizeI]           // coord0 < size0
v_cmp_lt_u32 s[54:55], v11, s[sgprSizeJ]           // coord1 < size1
s_and_b64 s[54:55], s[52:53], s[54:55]             // in0 && in1
v_mul_lo_u32 v9, v9, s[sgprStrideD1J]              // coord1 element offset =  coord1 * StrideD
_v_add_lshl_u32 v9, v9, v10, 0x2                   // scale to BPE
v_cndmask_b32 v9, -1, v9, s[54:55]                 // clip if OOB. offset
_buffer_store_b128 v[16:19], v9, s[sgprSrdD:sgprSrdD+3], 0, offen, offset:0 // store D
	;; [unrolled: 11-line block ×4, first 2 shown]

s_barrier //wait all lds read finished
s_nop 0                                            // 1 wait state required when next inst writes vgprs held by previous dwordx4 store inst
s_branch label_GW_End_99                           // jump to end
GW_Beta_100:
s_and_b32 s32, 127, s[sgprSizeI]                   // s32 = s[sgprSizeI] % 128
s_add_u32 s33, -0x1, s[sgprNumWorkGroups0]         // 
s_cmp_ge_u32 s[sgprWorkGroup0], s33                // wg0 >= nwg0-1 ?
s_cselect_b32 s32, s32, 0                          // set rMT0
s_cmpk_gt_u32 s32, 0x0                             // rMT0 > 0
s_cbranch_scc1 GW_B1_E1_98                         // jump if edges required
s_mov_b32 s35, 0x0                                 // STATIC_DIV: divisior=96
s_mul_i32 s34, 0x555, s[sgprSizeJ]                 // tmp1 = dividend * magic hi
s_lshl_b64 s[34:35], s[34:35], 0x10                // left shift 16 bits
s_mul_i32 s33, s[sgprSizeJ], 0x5556                // tmp0 = dividend * magic lo
s_add_u32 s34, s33, s34                            // add lo
s_addc_u32 s35, s35, 0x0                           // add hi
s_lshr_b64 s[34:35], s[34:35], 0x21                // tmp1 = (dividend * magic) << shift
s_mov_b32 s33, s34                                 // quotient
s_mul_i32 s34, s33, 0x60                           // quotient*divisor
s_sub_u32 s32, s[sgprSizeJ], s34                   // rReg = dividend - quotient*divisor
s_add_u32 s33, -0x1, s[sgprNumWorkGroups1]         // 
s_cmp_ge_u32 s[sgprWorkGroup1], s33                // wg1 >= nwg1-1
s_cselect_b32 s32, s32, 0                          // set rMT1
s_cmpk_gt_u32 s32, 0x0                             // rMT1 > 0
s_cbranch_scc1 GW_B1_E1_98                         // jump if edges required
GW_B1_E0_95:

/* edge=0, allocate 2 sgpr. perBatchTmpS=2 perBatchMaskS=0 perElementMaskS=0 elementsPerBatch=4 */
/* optSingleColVgpr=1 optSharedColVgpr=0 optSGPRUsage=BufferLoad_Mask optSrdIncForRow=1 */

/******************************************/
/* Global Write Alpha Beta Batch #0 (d1,d0,vc1,vc0) = */
/*    (0,0,0,0:vw4); (0,1,0,0:vw4); (0,2,0,0:vw4); (0,3,0,0:vw4) */
/******************************************/

/* calc coords, apply mask, and issue loads (if necessary) */
/* (d1,vc1,d0,vc0)=(0,0,0,0) */
_v_add_lshl_u32 v12, v2, v0, 0x2                   // optSingleColVgpr scaleToBpe: sharedAddrVgpr <- cinRowPtr + coord0, scaled by BPE. BSHERE:coord0=0, coord0Vgpr=0
_buffer_load_b128 v[16:19], v12, s[sgprSrdC:sgprSrdC+3], 0, offen offset:0 // load C for beta calc
/* (d1,vc1,d0,vc0)=(0,0,1,0) */
_buffer_load_b128 v[24:27], v12, s[sgprSrdC:sgprSrdC+3], 0, offen offset:32 // load C for beta calc
/* (d1,vc1,d0,vc0)=(0,0,2,0) */
	;; [unrolled: 2-line block ×3, first 2 shown]
_buffer_load_b128 v[40:43], v12, s[sgprSrdC:sgprSrdC+3], 0, offen offset:96 // load C for beta calc
_v_add_lshl_u32 v9, v3, v0, 0x2                    // optSingleColVgpr scaleToBpe: sharedAddrVgpr <- cinRowPtr + coord0, scaled by BPE. BSHERE:coord0=0, coord0Vgpr=0
v_accvgpr_read_b32 v[vgprValuC+20], acc0 // copy acc to vreg[0]
v_accvgpr_read_b32 v[vgprValuC+21], acc1 // copy acc to vreg[1]
v_accvgpr_read_b32 v[vgprValuC+22], acc2 // copy acc to vreg[2]
v_accvgpr_read_b32 v[vgprValuC+23], acc3 // copy acc to vreg[3]
v_accvgpr_read_b32 v[vgprValuC+28], acc4 // copy acc to vreg[4]
v_accvgpr_read_b32 v[vgprValuC+29], acc5 // copy acc to vreg[5]
v_accvgpr_read_b32 v[vgprValuC+30], acc6 // copy acc to vreg[6]
v_accvgpr_read_b32 v[vgprValuC+31], acc7 // copy acc to vreg[7]
v_accvgpr_read_b32 v[vgprValuC+36], acc8 // copy acc to vreg[8]
v_accvgpr_read_b32 v[vgprValuC+37], acc9 // copy acc to vreg[9]
v_accvgpr_read_b32 v[vgprValuC+38], acc10 // copy acc to vreg[10]
v_accvgpr_read_b32 v[vgprValuC+39], acc11 // copy acc to vreg[11]
v_accvgpr_read_b32 v[vgprValuC+44], acc12 // copy acc to vreg[12]
v_accvgpr_read_b32 v[vgprValuC+45], acc13 // copy acc to vreg[13]
v_accvgpr_read_b32 v[vgprValuC+46], acc14 // copy acc to vreg[14]
v_accvgpr_read_b32 v[vgprValuC+47], acc15 // copy acc to vreg[15]
s_nop 1                                            // 2 wait states required before reading vgpr

/* rC *= alpha batchElements=[(0, 0, 0, 0), (0, 1, 0, 0), (0, 2, 0, 0), (0, 3, 0, 0)] */
v_mul_lo_u32 v[vgprValuC+20], s[sgprAlpha], v[vgprValuC+20] // *= alpha
v_mul_lo_u32 v[vgprValuC+21], s[sgprAlpha], v[vgprValuC+21] // *= alpha
	;; [unrolled: 1-line block ×16, first 2 shown]

/* apply mask, calc new C and issue writes */

s_waitcnt vmcnt(3)                                 // wait C (interleaved) 3 = 4 - 0 + 0 - 1
v_mul_lo_u32 v16, s[sgprBeta], v16                 // C = C*beta
_v_add_u32 v[vgprValuC+20], v16, v[vgprValuC+20]   // finalSum = sum*alpha + C*beta
v_mul_lo_u32 v17, s[sgprBeta], v17                 // C = C*beta
_v_add_u32 v[vgprValuC+21], v17, v[vgprValuC+21]   // finalSum = sum*alpha + C*beta
	;; [unrolled: 2-line block ×4, first 2 shown]
_ds_store_b128 v7, v[20:23], offset:0              // storeRemap lw

s_waitcnt vmcnt(2)                                 // wait C (interleaved) 2 = 4 - 1 + 0 - 1
v_mul_lo_u32 v24, s[sgprBeta], v24                 // C = C*beta
_v_add_u32 v[vgprValuC+28], v24, v[vgprValuC+28]   // finalSum = sum*alpha + C*beta
v_mul_lo_u32 v25, s[sgprBeta], v25                 // C = C*beta
_v_add_u32 v[vgprValuC+29], v25, v[vgprValuC+29]   // finalSum = sum*alpha + C*beta
v_mul_lo_u32 v26, s[sgprBeta], v26                 // C = C*beta
_v_add_u32 v[vgprValuC+30], v26, v[vgprValuC+30]   // finalSum = sum*alpha + C*beta
v_mul_lo_u32 v27, s[sgprBeta], v27                 // C = C*beta
_v_add_u32 v[vgprValuC+31], v27, v[vgprValuC+31]   // finalSum = sum*alpha + C*beta
_ds_store_b128 v7, v[28:31], offset:32             // storeRemap lw

s_waitcnt vmcnt(1)                                 // wait C (interleaved) 1 = 4 - 2 + 0 - 1
v_mul_lo_u32 v32, s[sgprBeta], v32                 // C = C*beta
_v_add_u32 v[vgprValuC+36], v32, v[vgprValuC+36]   // finalSum = sum*alpha + C*beta
v_mul_lo_u32 v33, s[sgprBeta], v33                 // C = C*beta
_v_add_u32 v[vgprValuC+37], v33, v[vgprValuC+37]   // finalSum = sum*alpha + C*beta
v_mul_lo_u32 v34, s[sgprBeta], v34                 // C = C*beta
_v_add_u32 v[vgprValuC+38], v34, v[vgprValuC+38]   // finalSum = sum*alpha + C*beta
v_mul_lo_u32 v35, s[sgprBeta], v35                 // C = C*beta
_v_add_u32 v[vgprValuC+39], v35, v[vgprValuC+39]   // finalSum = sum*alpha + C*beta
_ds_store_b128 v7, v[36:39], offset:64             // storeRemap lw
	;; [unrolled: 11-line block ×3, first 2 shown]

/* Handle local read and global write */
s_waitcnt lgkmcnt(0)                               // wait for LDS write
s_barrier //wait all lds write finished

_ds_load_b128 v[16:19], v8, offset:0               // storeRemap lr
_ds_load_b128 v[20:23], v8, offset:1056            // storeRemap lr
_ds_load_b128 v[24:27], v8, offset:2112            // storeRemap lr
	;; [unrolled: 1-line block ×3, first 2 shown]

v_mov_b32 v13, v6                                  // coord1
v_mul_lo_u32 v13, v13, s[sgprStrideD1J]            // coord1 offset =  coord1 * StrideD
_v_add_lshl_u32 v13, v13, v4, 0x2                  // global write D address
s_waitcnt lgkmcnt(3)                               // wait for LDS read
_buffer_store_b128 v[16:19], v13, s[sgprSrdD:sgprSrdD+3], 0, offen, offset:0 // store D
_v_add_u32 v13, v6, 2                              // coord1 += nColPerLoad
v_mul_lo_u32 v13, v13, s[sgprStrideD1J]            // coord1 offset =  coord1 * StrideD
_v_add_lshl_u32 v13, v13, v4, 0x2                  // global write D address
s_waitcnt lgkmcnt(2)                               // wait for LDS read
_buffer_store_b128 v[20:23], v13, s[sgprSrdD:sgprSrdD+3], 0, offen, offset:0 // store D
_v_add_u32 v13, v6, 4                              // coord1 += nColPerLoad
	;; [unrolled: 5-line block ×3, first 2 shown]
v_mul_lo_u32 v13, v13, s[sgprStrideD1J]            // coord1 offset =  coord1 * StrideD
_v_add_lshl_u32 v13, v13, v4, 0x2                  // global write D address
s_waitcnt lgkmcnt(0)                               // wait for LDS read
_buffer_store_b128 v[28:31], v13, s[sgprSrdD:sgprSrdD+3], 0, offen, offset:0 // store D

s_barrier //wait all lds read finished
s_nop 0                                            // 1 wait state required when next inst writes vgprs held by previous dwordx4 store inst
/* optSingleColVgpr=1 optSharedColVgpr=0 optSGPRUsage=BufferLoad_Mask optSrdIncForRow=1 */

/******************************************/
/* Global Write Alpha Beta Batch #1 (d1,d0,vc1,vc0) = */
/*    (1,0,0,0:vw4); (1,1,0,0:vw4); (1,2,0,0:vw4); (1,3,0,0:vw4) */
/******************************************/

/* calc coords, apply mask, and issue loads (if necessary) */
/* (d1,vc1,d0,vc0)=(1,0,0,0) */
s_mul_i32 s32, s[sgprStrideC1J], 128               // scale StrideC *= numRows(32) * bpe
s_add_u32  s[sgprSrdC+0], s[sgprSrdC+0], s32       // incToNextRow: gra SRD += inc(lower)
s_addc_u32  s[sgprSrdC+1], s[sgprSrdC+1], 0        // incToNextRow: gra SRD += inc(upper)
_buffer_load_b128 v[16:19], v12, s[sgprSrdC:sgprSrdC+3], 0, offen offset:0 // load C for beta calc
/* (d1,vc1,d0,vc0)=(1,0,1,0) */
_buffer_load_b128 v[24:27], v12, s[sgprSrdC:sgprSrdC+3], 0, offen offset:32 // load C for beta calc
/* (d1,vc1,d0,vc0)=(1,0,2,0) */
	;; [unrolled: 2-line block ×3, first 2 shown]
_buffer_load_b128 v[40:43], v12, s[sgprSrdC:sgprSrdC+3], 0, offen offset:96 // load C for beta calc
v_accvgpr_read_b32 v[vgprValuC+20], acc16 // copy acc to vreg[16]
v_accvgpr_read_b32 v[vgprValuC+21], acc17 // copy acc to vreg[17]
v_accvgpr_read_b32 v[vgprValuC+22], acc18 // copy acc to vreg[18]
v_accvgpr_read_b32 v[vgprValuC+23], acc19 // copy acc to vreg[19]
v_accvgpr_read_b32 v[vgprValuC+28], acc20 // copy acc to vreg[20]
v_accvgpr_read_b32 v[vgprValuC+29], acc21 // copy acc to vreg[21]
v_accvgpr_read_b32 v[vgprValuC+30], acc22 // copy acc to vreg[22]
v_accvgpr_read_b32 v[vgprValuC+31], acc23 // copy acc to vreg[23]
v_accvgpr_read_b32 v[vgprValuC+36], acc24 // copy acc to vreg[24]
v_accvgpr_read_b32 v[vgprValuC+37], acc25 // copy acc to vreg[25]
v_accvgpr_read_b32 v[vgprValuC+38], acc26 // copy acc to vreg[26]
v_accvgpr_read_b32 v[vgprValuC+39], acc27 // copy acc to vreg[27]
v_accvgpr_read_b32 v[vgprValuC+44], acc28 // copy acc to vreg[28]
v_accvgpr_read_b32 v[vgprValuC+45], acc29 // copy acc to vreg[29]
v_accvgpr_read_b32 v[vgprValuC+46], acc30 // copy acc to vreg[30]
v_accvgpr_read_b32 v[vgprValuC+47], acc31 // copy acc to vreg[31]
s_nop 1                                            // 2 wait states required before reading vgpr

/* rC *= alpha batchElements=[(1, 0, 0, 0), (1, 1, 0, 0), (1, 2, 0, 0), (1, 3, 0, 0)] */
v_mul_lo_u32 v[vgprValuC+20], s[sgprAlpha], v[vgprValuC+20] // *= alpha
v_mul_lo_u32 v[vgprValuC+21], s[sgprAlpha], v[vgprValuC+21] // *= alpha
	;; [unrolled: 1-line block ×16, first 2 shown]

/* apply mask, calc new C and issue writes */

/* StoreRemap: shift coord1 address */
s_mul_i32 s32, s[sgprStrideD1J], 128               // scale StrideD *= numRows(32) * bpe
s_add_u32  s[sgprSrdD+0], s[sgprSrdD+0], s32       // incToNextRow: gra SRD += inc(lower)
s_addc_u32  s[sgprSrdD+1], s[sgprSrdD+1], 0        // incToNextRow: gra SRD += inc(upper)
v_mov_b32 v10, 32                                  // set shift rows
_v_add_u32 v5, v5, v10                             // shift storeRemap coord1

s_waitcnt vmcnt(3)                                 // wait C (interleaved) 3 = 4 - 0 + 0 - 1
v_mul_lo_u32 v16, s[sgprBeta], v16                 // C = C*beta
_v_add_u32 v[vgprValuC+20], v16, v[vgprValuC+20]   // finalSum = sum*alpha + C*beta
v_mul_lo_u32 v17, s[sgprBeta], v17                 // C = C*beta
_v_add_u32 v[vgprValuC+21], v17, v[vgprValuC+21]   // finalSum = sum*alpha + C*beta
v_mul_lo_u32 v18, s[sgprBeta], v18                 // C = C*beta
_v_add_u32 v[vgprValuC+22], v18, v[vgprValuC+22]   // finalSum = sum*alpha + C*beta
v_mul_lo_u32 v19, s[sgprBeta], v19                 // C = C*beta
_v_add_u32 v[vgprValuC+23], v19, v[vgprValuC+23]   // finalSum = sum*alpha + C*beta
_ds_store_b128 v7, v[20:23], offset:0              // storeRemap lw

s_waitcnt vmcnt(2)                                 // wait C (interleaved) 2 = 4 - 1 + 0 - 1
v_mul_lo_u32 v24, s[sgprBeta], v24                 // C = C*beta
_v_add_u32 v[vgprValuC+28], v24, v[vgprValuC+28]   // finalSum = sum*alpha + C*beta
v_mul_lo_u32 v25, s[sgprBeta], v25                 // C = C*beta
_v_add_u32 v[vgprValuC+29], v25, v[vgprValuC+29]   // finalSum = sum*alpha + C*beta
v_mul_lo_u32 v26, s[sgprBeta], v26                 // C = C*beta
_v_add_u32 v[vgprValuC+30], v26, v[vgprValuC+30]   // finalSum = sum*alpha + C*beta
v_mul_lo_u32 v27, s[sgprBeta], v27                 // C = C*beta
_v_add_u32 v[vgprValuC+31], v27, v[vgprValuC+31]   // finalSum = sum*alpha + C*beta
_ds_store_b128 v7, v[28:31], offset:32             // storeRemap lw

s_waitcnt vmcnt(1)                                 // wait C (interleaved) 1 = 4 - 2 + 0 - 1
v_mul_lo_u32 v32, s[sgprBeta], v32                 // C = C*beta
_v_add_u32 v[vgprValuC+36], v32, v[vgprValuC+36]   // finalSum = sum*alpha + C*beta
v_mul_lo_u32 v33, s[sgprBeta], v33                 // C = C*beta
_v_add_u32 v[vgprValuC+37], v33, v[vgprValuC+37]   // finalSum = sum*alpha + C*beta
v_mul_lo_u32 v34, s[sgprBeta], v34                 // C = C*beta
_v_add_u32 v[vgprValuC+38], v34, v[vgprValuC+38]   // finalSum = sum*alpha + C*beta
v_mul_lo_u32 v35, s[sgprBeta], v35                 // C = C*beta
_v_add_u32 v[vgprValuC+39], v35, v[vgprValuC+39]   // finalSum = sum*alpha + C*beta
_ds_store_b128 v7, v[36:39], offset:64             // storeRemap lw
	;; [unrolled: 11-line block ×3, first 2 shown]

/* Handle local read and global write */
s_waitcnt lgkmcnt(0)                               // wait for LDS write
s_barrier //wait all lds write finished

_ds_load_b128 v[16:19], v8, offset:0               // storeRemap lr
_ds_load_b128 v[20:23], v8, offset:1056            // storeRemap lr
_ds_load_b128 v[24:27], v8, offset:2112            // storeRemap lr
	;; [unrolled: 1-line block ×3, first 2 shown]

v_mov_b32 v13, v6                                  // coord1
v_mul_lo_u32 v13, v13, s[sgprStrideD1J]            // coord1 offset =  coord1 * StrideD
_v_add_lshl_u32 v13, v13, v4, 0x2                  // global write D address
s_waitcnt lgkmcnt(3)                               // wait for LDS read
_buffer_store_b128 v[16:19], v13, s[sgprSrdD:sgprSrdD+3], 0, offen, offset:0 // store D
_v_add_u32 v13, v6, 2                              // coord1 += nColPerLoad
v_mul_lo_u32 v13, v13, s[sgprStrideD1J]            // coord1 offset =  coord1 * StrideD
_v_add_lshl_u32 v13, v13, v4, 0x2                  // global write D address
s_waitcnt lgkmcnt(2)                               // wait for LDS read
_buffer_store_b128 v[20:23], v13, s[sgprSrdD:sgprSrdD+3], 0, offen, offset:0 // store D
_v_add_u32 v13, v6, 4                              // coord1 += nColPerLoad
v_mul_lo_u32 v13, v13, s[sgprStrideD1J]            // coord1 offset =  coord1 * StrideD
_v_add_lshl_u32 v13, v13, v4, 0x2                  // global write D address
s_waitcnt lgkmcnt(1)                               // wait for LDS read
_buffer_store_b128 v[24:27], v13, s[sgprSrdD:sgprSrdD+3], 0, offen, offset:0 // store D
_v_add_u32 v13, v6, 6                              // coord1 += nColPerLoad
v_mul_lo_u32 v13, v13, s[sgprStrideD1J]            // coord1 offset =  coord1 * StrideD
_v_add_lshl_u32 v13, v13, v4, 0x2                  // global write D address
s_waitcnt lgkmcnt(0)                               // wait for LDS read
_buffer_store_b128 v[28:31], v13, s[sgprSrdD:sgprSrdD+3], 0, offen, offset:0 // store D

s_barrier //wait all lds read finished
s_nop 0                                            // 1 wait state required when next inst writes vgprs held by previous dwordx4 store inst
/* optSingleColVgpr=1 optSharedColVgpr=0 optSGPRUsage=BufferLoad_Mask optSrdIncForRow=1 */

/******************************************/
/* Global Write Alpha Beta Batch #2 (d1,d0,vc1,vc0) = */
/*    (2,0,0,0:vw4); (2,1,0,0:vw4); (2,2,0,0:vw4); (2,3,0,0:vw4) */
/******************************************/

/* calc coords, apply mask, and issue loads (if necessary) */
/* (d1,vc1,d0,vc0)=(2,0,0,0) */
s_mul_i32 s32, s[sgprStrideC1J], 128               // scale StrideC *= numRows(32) * bpe
s_add_u32  s[sgprSrdC+0], s[sgprSrdC+0], s32       // incToNextRow: gra SRD += inc(lower)
s_addc_u32  s[sgprSrdC+1], s[sgprSrdC+1], 0        // incToNextRow: gra SRD += inc(upper)
_buffer_load_b128 v[16:19], v12, s[sgprSrdC:sgprSrdC+3], 0, offen offset:0 // load C for beta calc
/* (d1,vc1,d0,vc0)=(2,0,1,0) */
_buffer_load_b128 v[24:27], v12, s[sgprSrdC:sgprSrdC+3], 0, offen offset:32 // load C for beta calc
/* (d1,vc1,d0,vc0)=(2,0,2,0) */
	;; [unrolled: 2-line block ×3, first 2 shown]
_buffer_load_b128 v[40:43], v12, s[sgprSrdC:sgprSrdC+3], 0, offen offset:96 // load C for beta calc
v_accvgpr_read_b32 v[vgprValuC+20], acc32 // copy acc to vreg[32]
v_accvgpr_read_b32 v[vgprValuC+21], acc33 // copy acc to vreg[33]
v_accvgpr_read_b32 v[vgprValuC+22], acc34 // copy acc to vreg[34]
v_accvgpr_read_b32 v[vgprValuC+23], acc35 // copy acc to vreg[35]
v_accvgpr_read_b32 v[vgprValuC+28], acc36 // copy acc to vreg[36]
v_accvgpr_read_b32 v[vgprValuC+29], acc37 // copy acc to vreg[37]
v_accvgpr_read_b32 v[vgprValuC+30], acc38 // copy acc to vreg[38]
v_accvgpr_read_b32 v[vgprValuC+31], acc39 // copy acc to vreg[39]
v_accvgpr_read_b32 v[vgprValuC+36], acc40 // copy acc to vreg[40]
v_accvgpr_read_b32 v[vgprValuC+37], acc41 // copy acc to vreg[41]
v_accvgpr_read_b32 v[vgprValuC+38], acc42 // copy acc to vreg[42]
v_accvgpr_read_b32 v[vgprValuC+39], acc43 // copy acc to vreg[43]
v_accvgpr_read_b32 v[vgprValuC+44], acc44 // copy acc to vreg[44]
v_accvgpr_read_b32 v[vgprValuC+45], acc45 // copy acc to vreg[45]
v_accvgpr_read_b32 v[vgprValuC+46], acc46 // copy acc to vreg[46]
v_accvgpr_read_b32 v[vgprValuC+47], acc47 // copy acc to vreg[47]
s_nop 1                                            // 2 wait states required before reading vgpr

/* rC *= alpha batchElements=[(2, 0, 0, 0), (2, 1, 0, 0), (2, 2, 0, 0), (2, 3, 0, 0)] */
v_mul_lo_u32 v[vgprValuC+20], s[sgprAlpha], v[vgprValuC+20] // *= alpha
v_mul_lo_u32 v[vgprValuC+21], s[sgprAlpha], v[vgprValuC+21] // *= alpha
	;; [unrolled: 1-line block ×16, first 2 shown]

/* apply mask, calc new C and issue writes */

/* StoreRemap: shift coord1 address */
s_mul_i32 s32, s[sgprStrideD1J], 128               // scale StrideD *= numRows(32) * bpe
s_add_u32  s[sgprSrdD+0], s[sgprSrdD+0], s32       // incToNextRow: gra SRD += inc(lower)
s_addc_u32  s[sgprSrdD+1], s[sgprSrdD+1], 0        // incToNextRow: gra SRD += inc(upper)
v_mov_b32 v10, 32                                  // set shift rows
_v_add_u32 v5, v5, v10                             // shift storeRemap coord1

s_waitcnt vmcnt(3)                                 // wait C (interleaved) 3 = 4 - 0 + 0 - 1
v_mul_lo_u32 v16, s[sgprBeta], v16                 // C = C*beta
_v_add_u32 v[vgprValuC+20], v16, v[vgprValuC+20]   // finalSum = sum*alpha + C*beta
v_mul_lo_u32 v17, s[sgprBeta], v17                 // C = C*beta
_v_add_u32 v[vgprValuC+21], v17, v[vgprValuC+21]   // finalSum = sum*alpha + C*beta
	;; [unrolled: 2-line block ×4, first 2 shown]
_ds_store_b128 v7, v[20:23], offset:0              // storeRemap lw

s_waitcnt vmcnt(2)                                 // wait C (interleaved) 2 = 4 - 1 + 0 - 1
v_mul_lo_u32 v24, s[sgprBeta], v24                 // C = C*beta
_v_add_u32 v[vgprValuC+28], v24, v[vgprValuC+28]   // finalSum = sum*alpha + C*beta
v_mul_lo_u32 v25, s[sgprBeta], v25                 // C = C*beta
_v_add_u32 v[vgprValuC+29], v25, v[vgprValuC+29]   // finalSum = sum*alpha + C*beta
v_mul_lo_u32 v26, s[sgprBeta], v26                 // C = C*beta
_v_add_u32 v[vgprValuC+30], v26, v[vgprValuC+30]   // finalSum = sum*alpha + C*beta
v_mul_lo_u32 v27, s[sgprBeta], v27                 // C = C*beta
_v_add_u32 v[vgprValuC+31], v27, v[vgprValuC+31]   // finalSum = sum*alpha + C*beta
_ds_store_b128 v7, v[28:31], offset:32             // storeRemap lw

s_waitcnt vmcnt(1)                                 // wait C (interleaved) 1 = 4 - 2 + 0 - 1
v_mul_lo_u32 v32, s[sgprBeta], v32                 // C = C*beta
_v_add_u32 v[vgprValuC+36], v32, v[vgprValuC+36]   // finalSum = sum*alpha + C*beta
v_mul_lo_u32 v33, s[sgprBeta], v33                 // C = C*beta
_v_add_u32 v[vgprValuC+37], v33, v[vgprValuC+37]   // finalSum = sum*alpha + C*beta
v_mul_lo_u32 v34, s[sgprBeta], v34                 // C = C*beta
_v_add_u32 v[vgprValuC+38], v34, v[vgprValuC+38]   // finalSum = sum*alpha + C*beta
v_mul_lo_u32 v35, s[sgprBeta], v35                 // C = C*beta
_v_add_u32 v[vgprValuC+39], v35, v[vgprValuC+39]   // finalSum = sum*alpha + C*beta
_ds_store_b128 v7, v[36:39], offset:64             // storeRemap lw
	;; [unrolled: 11-line block ×3, first 2 shown]

/* Handle local read and global write */
s_waitcnt lgkmcnt(0)                               // wait for LDS write
s_barrier //wait all lds write finished

_ds_load_b128 v[16:19], v8, offset:0               // storeRemap lr
_ds_load_b128 v[20:23], v8, offset:1056            // storeRemap lr
_ds_load_b128 v[24:27], v8, offset:2112            // storeRemap lr
	;; [unrolled: 1-line block ×3, first 2 shown]

v_mov_b32 v13, v6                                  // coord1
v_mul_lo_u32 v13, v13, s[sgprStrideD1J]            // coord1 offset =  coord1 * StrideD
_v_add_lshl_u32 v13, v13, v4, 0x2                  // global write D address
s_waitcnt lgkmcnt(3)                               // wait for LDS read
_buffer_store_b128 v[16:19], v13, s[sgprSrdD:sgprSrdD+3], 0, offen, offset:0 // store D
_v_add_u32 v13, v6, 2                              // coord1 += nColPerLoad
v_mul_lo_u32 v13, v13, s[sgprStrideD1J]            // coord1 offset =  coord1 * StrideD
_v_add_lshl_u32 v13, v13, v4, 0x2                  // global write D address
s_waitcnt lgkmcnt(2)                               // wait for LDS read
_buffer_store_b128 v[20:23], v13, s[sgprSrdD:sgprSrdD+3], 0, offen, offset:0 // store D
_v_add_u32 v13, v6, 4                              // coord1 += nColPerLoad
v_mul_lo_u32 v13, v13, s[sgprStrideD1J]            // coord1 offset =  coord1 * StrideD
_v_add_lshl_u32 v13, v13, v4, 0x2                  // global write D address
s_waitcnt lgkmcnt(1)                               // wait for LDS read
_buffer_store_b128 v[24:27], v13, s[sgprSrdD:sgprSrdD+3], 0, offen, offset:0 // store D
_v_add_u32 v13, v6, 6                              // coord1 += nColPerLoad
v_mul_lo_u32 v13, v13, s[sgprStrideD1J]            // coord1 offset =  coord1 * StrideD
_v_add_lshl_u32 v13, v13, v4, 0x2                  // global write D address
s_waitcnt lgkmcnt(0)                               // wait for LDS read
_buffer_store_b128 v[28:31], v13, s[sgprSrdD:sgprSrdD+3], 0, offen, offset:0 // store D

s_barrier //wait all lds read finished
s_nop 0                                            // 1 wait state required when next inst writes vgprs held by previous dwordx4 store inst
s_branch label_GW_End_99                           // jump to end
GW_B1_E1_98:

/* edge=1, allocate 6 sgpr. perBatchTmpS=4 perBatchMaskS=2 perElementMaskS=0 elementsPerBatch=4 */
/* optSingleColVgpr=0 optSharedColVgpr=0 optSGPRUsage=BufferLoad_Edge_Mask optSrdIncForRow=1 */

/******************************************/
/* Global Write Alpha Beta Edge Batch #0 (d1,d0,vc1,vc0) = */
/*    (0,0,0,0:vw4); (0,1,0,0:vw4); (0,2,0,0:vw4); (0,3,0,0:vw4) */
/******************************************/

/* calc coords, apply mask, and issue loads (if necessary) */
/* (d1,vc1,d0,vc0)=(0,0,0,0) */
v_cmp_lt_u32 s[52:53], v0, s[sgprSizeI]            // coord0 < size0
v_cmp_lt_u32 s[56:57], v1, s[sgprSizeJ]            // coord1 < size1
s_and_b64 s[56:57], s[52:53], s[56:57]             // in0 && in1
_v_add_lshl_u32 v9, v2, v0, 0x2                    // scaleToBpe: accumulate d0 lower and *= bpe into Cin addr
v_cndmask_b32 v9, -1, v9, s[56:57]                 // LDC clip if OOB. offset
_buffer_load_b128 v[12:15], v9, s[sgprSrdC:sgprSrdC+3], 0, offen offset:0 // load C for beta calc
_v_add_lshl_u32 v9, v3, v0, 0x2                    // scaleToBpe: accumulate d0 lower and *= bpe into Cin addr
v_cndmask_b32 v9, -1, v9, s[56:57]                 // LDD clip if OOB. offset
/* (d1,vc1,d0,vc0)=(0,0,1,0) */
_v_add_co_u32 v10, vcc, v0, 8                      // coord0.1: coord0 += d0*sg0*VW + vc0
v_cmp_lt_u32 s[52:53], v10, s[sgprSizeI]           // coord0 < size0
v_cmp_lt_u32 s[56:57], v1, s[sgprSizeJ]            // coord1 < size1
s_and_b64 s[56:57], s[52:53], s[56:57]             // in0 && in1
_v_add_lshl_u32 v20, v2, v10, 0x2                  // scaleToBpe: accumulate d0 lower and *= bpe into Cin addr
v_cndmask_b32 v20, -1, v20, s[56:57]               // LDC clip if OOB. offset
_buffer_load_b128 v[24:27], v20, s[sgprSrdC:sgprSrdC+3], 0, offen offset:0 // load C for beta calc
_v_add_lshl_u32 v20, v3, v10, 0x2                  // scaleToBpe: accumulate d0 lower and *= bpe into Cin addr
v_cndmask_b32 v20, -1, v20, s[56:57]               // LDD clip if OOB. offset
/* (d1,vc1,d0,vc0)=(0,0,2,0) */
_v_add_co_u32 v10, vcc, v0, 16                     // coord0.1: coord0 += d0*sg0*VW + vc0
v_cmp_lt_u32 s[52:53], v10, s[sgprSizeI]           // coord0 < size0
v_cmp_lt_u32 s[56:57], v1, s[sgprSizeJ]            // coord1 < size1
s_and_b64 s[56:57], s[52:53], s[56:57]             // in0 && in1
_v_add_lshl_u32 v21, v2, v10, 0x2                  // scaleToBpe: accumulate d0 lower and *= bpe into Cin addr
v_cndmask_b32 v21, -1, v21, s[56:57]               // LDC clip if OOB. offset
_buffer_load_b128 v[32:35], v21, s[sgprSrdC:sgprSrdC+3], 0, offen offset:0 // load C for beta calc
_v_add_lshl_u32 v21, v3, v10, 0x2                  // scaleToBpe: accumulate d0 lower and *= bpe into Cin addr
v_cndmask_b32 v21, -1, v21, s[56:57]               // LDD clip if OOB. offset
/* (d1,vc1,d0,vc0)=(0,0,3,0) */
_v_add_co_u32 v10, vcc, v0, 24                     // coord0.1: coord0 += d0*sg0*VW + vc0
v_cmp_lt_u32 s[52:53], v10, s[sgprSizeI]           // coord0 < size0
v_cmp_lt_u32 s[56:57], v1, s[sgprSizeJ]            // coord1 < size1
s_and_b64 s[56:57], s[52:53], s[56:57]             // in0 && in1
_v_add_lshl_u32 v22, v2, v10, 0x2                  // scaleToBpe: accumulate d0 lower and *= bpe into Cin addr
v_cndmask_b32 v22, -1, v22, s[56:57]               // LDC clip if OOB. offset
_buffer_load_b128 v[40:43], v22, s[sgprSrdC:sgprSrdC+3], 0, offen offset:0 // load C for beta calc
_v_add_lshl_u32 v22, v3, v10, 0x2                  // scaleToBpe: accumulate d0 lower and *= bpe into Cin addr
v_cndmask_b32 v22, -1, v22, s[56:57]               // LDD clip if OOB. offset
v_accvgpr_read_b32 v[vgprValuC+16], acc0 // copy acc to vreg[0]
v_accvgpr_read_b32 v[vgprValuC+17], acc1 // copy acc to vreg[1]
v_accvgpr_read_b32 v[vgprValuC+18], acc2 // copy acc to vreg[2]
v_accvgpr_read_b32 v[vgprValuC+19], acc3 // copy acc to vreg[3]
v_accvgpr_read_b32 v[vgprValuC+28], acc4 // copy acc to vreg[4]
v_accvgpr_read_b32 v[vgprValuC+29], acc5 // copy acc to vreg[5]
v_accvgpr_read_b32 v[vgprValuC+30], acc6 // copy acc to vreg[6]
v_accvgpr_read_b32 v[vgprValuC+31], acc7 // copy acc to vreg[7]
v_accvgpr_read_b32 v[vgprValuC+36], acc8 // copy acc to vreg[8]
v_accvgpr_read_b32 v[vgprValuC+37], acc9 // copy acc to vreg[9]
v_accvgpr_read_b32 v[vgprValuC+38], acc10 // copy acc to vreg[10]
v_accvgpr_read_b32 v[vgprValuC+39], acc11 // copy acc to vreg[11]
v_accvgpr_read_b32 v[vgprValuC+44], acc12 // copy acc to vreg[12]
v_accvgpr_read_b32 v[vgprValuC+45], acc13 // copy acc to vreg[13]
v_accvgpr_read_b32 v[vgprValuC+46], acc14 // copy acc to vreg[14]
v_accvgpr_read_b32 v[vgprValuC+47], acc15 // copy acc to vreg[15]
s_nop 1                                            // 2 wait states required before reading vgpr

/* rC *= alpha batchElements=[(0, 0, 0, 0), (0, 1, 0, 0), (0, 2, 0, 0), (0, 3, 0, 0)] */
v_mul_lo_u32 v[vgprValuC+16], s[sgprAlpha], v[vgprValuC+16] // *= alpha
v_mul_lo_u32 v[vgprValuC+17], s[sgprAlpha], v[vgprValuC+17] // *= alpha
	;; [unrolled: 1-line block ×16, first 2 shown]
s_waitcnt vmcnt(0)                                 // wait C

/* apply mask, calc new C and issue writes */
v_mul_lo_u32 v12, s[sgprBeta], v12                 // C = C*beta
_v_add_u32 v[vgprValuC+16], v12, v[vgprValuC+16]   // finalSum = sum*alpha + C*beta
v_mul_lo_u32 v13, s[sgprBeta], v13                 // C = C*beta
_v_add_u32 v[vgprValuC+17], v13, v[vgprValuC+17]   // finalSum = sum*alpha + C*beta
	;; [unrolled: 2-line block ×4, first 2 shown]
_ds_store_b128 v7, v[16:19], offset:0              // storeRemap lw
v_mul_lo_u32 v24, s[sgprBeta], v24                 // C = C*beta
_v_add_u32 v[vgprValuC+28], v24, v[vgprValuC+28]   // finalSum = sum*alpha + C*beta
v_mul_lo_u32 v25, s[sgprBeta], v25                 // C = C*beta
_v_add_u32 v[vgprValuC+29], v25, v[vgprValuC+29]   // finalSum = sum*alpha + C*beta
v_mul_lo_u32 v26, s[sgprBeta], v26                 // C = C*beta
_v_add_u32 v[vgprValuC+30], v26, v[vgprValuC+30]   // finalSum = sum*alpha + C*beta
v_mul_lo_u32 v27, s[sgprBeta], v27                 // C = C*beta
_v_add_u32 v[vgprValuC+31], v27, v[vgprValuC+31]   // finalSum = sum*alpha + C*beta
_ds_store_b128 v7, v[28:31], offset:32             // storeRemap lw
v_mul_lo_u32 v32, s[sgprBeta], v32                 // C = C*beta
_v_add_u32 v[vgprValuC+36], v32, v[vgprValuC+36]   // finalSum = sum*alpha + C*beta
v_mul_lo_u32 v33, s[sgprBeta], v33                 // C = C*beta
_v_add_u32 v[vgprValuC+37], v33, v[vgprValuC+37]   // finalSum = sum*alpha + C*beta
v_mul_lo_u32 v34, s[sgprBeta], v34                 // C = C*beta
_v_add_u32 v[vgprValuC+38], v34, v[vgprValuC+38]   // finalSum = sum*alpha + C*beta
v_mul_lo_u32 v35, s[sgprBeta], v35                 // C = C*beta
_v_add_u32 v[vgprValuC+39], v35, v[vgprValuC+39]   // finalSum = sum*alpha + C*beta
_ds_store_b128 v7, v[36:39], offset:64             // storeRemap lw
	;; [unrolled: 9-line block ×3, first 2 shown]

/* Handle local read and global write */
s_waitcnt lgkmcnt(0)                               // wait for LDS write
s_barrier //wait all lds write finished

_ds_load_b128 v[12:15], v8, offset:0               // storeRemap lr
_ds_load_b128 v[16:19], v8, offset:1056            // storeRemap lr
_ds_load_b128 v[20:23], v8, offset:2112            // storeRemap lr
_ds_load_b128 v[24:27], v8, offset:3168            // storeRemap lr

s_waitcnt lgkmcnt(3)                               // wait for LDS read
_v_add_u32 v11, v5, 0                              // coord1 += nColPerLoad
_v_add_u32 v10, v4, 0                              // coord0 += element index of load vector
_v_add_u32 v9, v6, 0                               // offset coord1 += nColPerLoad
v_cmp_lt_u32 s[52:53], v10, s[sgprSizeI]           // coord0 < size0
v_cmp_lt_u32 s[54:55], v11, s[sgprSizeJ]           // coord1 < size1
s_and_b64 s[54:55], s[52:53], s[54:55]             // in0 && in1
v_mul_lo_u32 v9, v9, s[sgprStrideD1J]              // coord1 element offset =  coord1 * StrideD
_v_add_lshl_u32 v9, v9, v10, 0x2                   // scale to BPE
v_cndmask_b32 v9, -1, v9, s[54:55]                 // clip if OOB. offset
_buffer_store_b128 v[12:15], v9, s[sgprSrdD:sgprSrdD+3], 0, offen, offset:0 // store D
s_waitcnt lgkmcnt(2)                               // wait for LDS read
_v_add_u32 v11, v5, 2                              // coord1 += nColPerLoad
_v_add_u32 v10, v4, 0                              // coord0 += element index of load vector
_v_add_u32 v9, v6, 2                               // offset coord1 += nColPerLoad
v_cmp_lt_u32 s[52:53], v10, s[sgprSizeI]           // coord0 < size0
v_cmp_lt_u32 s[54:55], v11, s[sgprSizeJ]           // coord1 < size1
s_and_b64 s[54:55], s[52:53], s[54:55]             // in0 && in1
v_mul_lo_u32 v9, v9, s[sgprStrideD1J]              // coord1 element offset =  coord1 * StrideD
_v_add_lshl_u32 v9, v9, v10, 0x2                   // scale to BPE
v_cndmask_b32 v9, -1, v9, s[54:55]                 // clip if OOB. offset
_buffer_store_b128 v[16:19], v9, s[sgprSrdD:sgprSrdD+3], 0, offen, offset:0 // store D
	;; [unrolled: 11-line block ×4, first 2 shown]

s_barrier //wait all lds read finished
s_nop 0                                            // 1 wait state required when next inst writes vgprs held by previous dwordx4 store inst
/* optSingleColVgpr=0 optSharedColVgpr=0 optSGPRUsage=BufferLoad_Edge_Mask optSrdIncForRow=1 */

/******************************************/
/* Global Write Alpha Beta Edge Batch #1 (d1,d0,vc1,vc0) = */
/*    (1,0,0,0:vw4); (1,1,0,0:vw4); (1,2,0,0:vw4); (1,3,0,0:vw4) */
/******************************************/

/* calc coords, apply mask, and issue loads (if necessary) */
/* (d1,vc1,d0,vc0)=(1,0,0,0) */
_v_add_co_u32 v1, vcc, v1, 32                      // coord1.1: coord1Vgpr += d1*sg1*VW + vc1
v_cmp_lt_u32 s[52:53], v0, s[sgprSizeI]            // coord0 < size0
v_cmp_lt_u32 s[56:57], v1, s[sgprSizeJ]            // coord1 < size1
s_and_b64 s[56:57], s[52:53], s[56:57]             // in0 && in1
_v_add_lshl_u32 v9, v2, v0, 0x2                    // scaleToBpe: accumulate d0 lower and *= bpe into Cin addr
v_cndmask_b32 v9, -1, v9, s[56:57]                 // LDC clip if OOB. offset
s_mul_i32 s52, s[sgprStrideC1J], 128               // scale StrideC *= numRows(32) * bpe
s_add_u32  s[sgprSrdC+0], s[sgprSrdC+0], s52       // incToNextRow: gra SRD += inc(lower)
s_addc_u32  s[sgprSrdC+1], s[sgprSrdC+1], 0        // incToNextRow: gra SRD += inc(upper)
_buffer_load_b128 v[12:15], v9, s[sgprSrdC:sgprSrdC+3], 0, offen offset:0 // load C for beta calc
_v_add_lshl_u32 v9, v3, v0, 0x2                    // scaleToBpe: accumulate d0 lower and *= bpe into Cin addr
v_cndmask_b32 v9, -1, v9, s[56:57]                 // LDD clip if OOB. offset
/* (d1,vc1,d0,vc0)=(1,0,1,0) */
_v_add_co_u32 v10, vcc, v0, 8                      // coord0.1: coord0 += d0*sg0*VW + vc0
v_cmp_lt_u32 s[52:53], v10, s[sgprSizeI]           // coord0 < size0
v_cmp_lt_u32 s[56:57], v1, s[sgprSizeJ]            // coord1 < size1
s_and_b64 s[56:57], s[52:53], s[56:57]             // in0 && in1
_v_add_lshl_u32 v20, v2, v10, 0x2                  // scaleToBpe: accumulate d0 lower and *= bpe into Cin addr
v_cndmask_b32 v20, -1, v20, s[56:57]               // LDC clip if OOB. offset
_buffer_load_b128 v[24:27], v20, s[sgprSrdC:sgprSrdC+3], 0, offen offset:0 // load C for beta calc
_v_add_lshl_u32 v20, v3, v10, 0x2                  // scaleToBpe: accumulate d0 lower and *= bpe into Cin addr
v_cndmask_b32 v20, -1, v20, s[56:57]               // LDD clip if OOB. offset
/* (d1,vc1,d0,vc0)=(1,0,2,0) */
_v_add_co_u32 v10, vcc, v0, 16                     // coord0.1: coord0 += d0*sg0*VW + vc0
v_cmp_lt_u32 s[52:53], v10, s[sgprSizeI]           // coord0 < size0
v_cmp_lt_u32 s[56:57], v1, s[sgprSizeJ]            // coord1 < size1
s_and_b64 s[56:57], s[52:53], s[56:57]             // in0 && in1
_v_add_lshl_u32 v21, v2, v10, 0x2                  // scaleToBpe: accumulate d0 lower and *= bpe into Cin addr
v_cndmask_b32 v21, -1, v21, s[56:57]               // LDC clip if OOB. offset
_buffer_load_b128 v[32:35], v21, s[sgprSrdC:sgprSrdC+3], 0, offen offset:0 // load C for beta calc
_v_add_lshl_u32 v21, v3, v10, 0x2                  // scaleToBpe: accumulate d0 lower and *= bpe into Cin addr
v_cndmask_b32 v21, -1, v21, s[56:57]               // LDD clip if OOB. offset
/* (d1,vc1,d0,vc0)=(1,0,3,0) */
_v_add_co_u32 v10, vcc, v0, 24                     // coord0.1: coord0 += d0*sg0*VW + vc0
v_cmp_lt_u32 s[52:53], v10, s[sgprSizeI]           // coord0 < size0
v_cmp_lt_u32 s[56:57], v1, s[sgprSizeJ]            // coord1 < size1
s_and_b64 s[56:57], s[52:53], s[56:57]             // in0 && in1
_v_add_lshl_u32 v22, v2, v10, 0x2                  // scaleToBpe: accumulate d0 lower and *= bpe into Cin addr
v_cndmask_b32 v22, -1, v22, s[56:57]               // LDC clip if OOB. offset
_buffer_load_b128 v[40:43], v22, s[sgprSrdC:sgprSrdC+3], 0, offen offset:0 // load C for beta calc
_v_add_lshl_u32 v22, v3, v10, 0x2                  // scaleToBpe: accumulate d0 lower and *= bpe into Cin addr
v_cndmask_b32 v22, -1, v22, s[56:57]               // LDD clip if OOB. offset
v_accvgpr_read_b32 v[vgprValuC+16], acc16 // copy acc to vreg[16]
v_accvgpr_read_b32 v[vgprValuC+17], acc17 // copy acc to vreg[17]
v_accvgpr_read_b32 v[vgprValuC+18], acc18 // copy acc to vreg[18]
v_accvgpr_read_b32 v[vgprValuC+19], acc19 // copy acc to vreg[19]
v_accvgpr_read_b32 v[vgprValuC+28], acc20 // copy acc to vreg[20]
v_accvgpr_read_b32 v[vgprValuC+29], acc21 // copy acc to vreg[21]
v_accvgpr_read_b32 v[vgprValuC+30], acc22 // copy acc to vreg[22]
v_accvgpr_read_b32 v[vgprValuC+31], acc23 // copy acc to vreg[23]
v_accvgpr_read_b32 v[vgprValuC+36], acc24 // copy acc to vreg[24]
v_accvgpr_read_b32 v[vgprValuC+37], acc25 // copy acc to vreg[25]
v_accvgpr_read_b32 v[vgprValuC+38], acc26 // copy acc to vreg[26]
v_accvgpr_read_b32 v[vgprValuC+39], acc27 // copy acc to vreg[27]
v_accvgpr_read_b32 v[vgprValuC+44], acc28 // copy acc to vreg[28]
v_accvgpr_read_b32 v[vgprValuC+45], acc29 // copy acc to vreg[29]
v_accvgpr_read_b32 v[vgprValuC+46], acc30 // copy acc to vreg[30]
v_accvgpr_read_b32 v[vgprValuC+47], acc31 // copy acc to vreg[31]
s_nop 1                                            // 2 wait states required before reading vgpr

/* rC *= alpha batchElements=[(1, 0, 0, 0), (1, 1, 0, 0), (1, 2, 0, 0), (1, 3, 0, 0)] */
v_mul_lo_u32 v[vgprValuC+16], s[sgprAlpha], v[vgprValuC+16] // *= alpha
v_mul_lo_u32 v[vgprValuC+17], s[sgprAlpha], v[vgprValuC+17] // *= alpha
	;; [unrolled: 1-line block ×16, first 2 shown]
s_waitcnt vmcnt(0)                                 // wait C

/* apply mask, calc new C and issue writes */

/* StoreRemap: shift coord1 address */
s_mul_i32 s52, s[sgprStrideD1J], 128               // scale StrideD *= numRows(32) * bpe
s_add_u32  s[sgprSrdD+0], s[sgprSrdD+0], s52       // incToNextRow: gra SRD += inc(lower)
s_addc_u32  s[sgprSrdD+1], s[sgprSrdD+1], 0        // incToNextRow: gra SRD += inc(upper)
v_mov_b32 v10, 32                                  // set shift rows
_v_add_u32 v5, v5, v10                             // shift storeRemap coord1
v_mul_lo_u32 v12, s[sgprBeta], v12                 // C = C*beta
_v_add_u32 v[vgprValuC+16], v12, v[vgprValuC+16]   // finalSum = sum*alpha + C*beta
v_mul_lo_u32 v13, s[sgprBeta], v13                 // C = C*beta
_v_add_u32 v[vgprValuC+17], v13, v[vgprValuC+17]   // finalSum = sum*alpha + C*beta
	;; [unrolled: 2-line block ×4, first 2 shown]
_ds_store_b128 v7, v[16:19], offset:0              // storeRemap lw
v_mul_lo_u32 v24, s[sgprBeta], v24                 // C = C*beta
_v_add_u32 v[vgprValuC+28], v24, v[vgprValuC+28]   // finalSum = sum*alpha + C*beta
v_mul_lo_u32 v25, s[sgprBeta], v25                 // C = C*beta
_v_add_u32 v[vgprValuC+29], v25, v[vgprValuC+29]   // finalSum = sum*alpha + C*beta
v_mul_lo_u32 v26, s[sgprBeta], v26                 // C = C*beta
_v_add_u32 v[vgprValuC+30], v26, v[vgprValuC+30]   // finalSum = sum*alpha + C*beta
v_mul_lo_u32 v27, s[sgprBeta], v27                 // C = C*beta
_v_add_u32 v[vgprValuC+31], v27, v[vgprValuC+31]   // finalSum = sum*alpha + C*beta
_ds_store_b128 v7, v[28:31], offset:32             // storeRemap lw
v_mul_lo_u32 v32, s[sgprBeta], v32                 // C = C*beta
_v_add_u32 v[vgprValuC+36], v32, v[vgprValuC+36]   // finalSum = sum*alpha + C*beta
v_mul_lo_u32 v33, s[sgprBeta], v33                 // C = C*beta
_v_add_u32 v[vgprValuC+37], v33, v[vgprValuC+37]   // finalSum = sum*alpha + C*beta
v_mul_lo_u32 v34, s[sgprBeta], v34                 // C = C*beta
_v_add_u32 v[vgprValuC+38], v34, v[vgprValuC+38]   // finalSum = sum*alpha + C*beta
v_mul_lo_u32 v35, s[sgprBeta], v35                 // C = C*beta
_v_add_u32 v[vgprValuC+39], v35, v[vgprValuC+39]   // finalSum = sum*alpha + C*beta
_ds_store_b128 v7, v[36:39], offset:64             // storeRemap lw
	;; [unrolled: 9-line block ×3, first 2 shown]

/* Handle local read and global write */
s_waitcnt lgkmcnt(0)                               // wait for LDS write
s_barrier //wait all lds write finished

_ds_load_b128 v[12:15], v8, offset:0               // storeRemap lr
_ds_load_b128 v[16:19], v8, offset:1056            // storeRemap lr
_ds_load_b128 v[20:23], v8, offset:2112            // storeRemap lr
	;; [unrolled: 1-line block ×3, first 2 shown]

s_waitcnt lgkmcnt(3)                               // wait for LDS read
_v_add_u32 v11, v5, 0                              // coord1 += nColPerLoad
_v_add_u32 v10, v4, 0                              // coord0 += element index of load vector
_v_add_u32 v9, v6, 0                               // offset coord1 += nColPerLoad
v_cmp_lt_u32 s[52:53], v10, s[sgprSizeI]           // coord0 < size0
v_cmp_lt_u32 s[54:55], v11, s[sgprSizeJ]           // coord1 < size1
s_and_b64 s[54:55], s[52:53], s[54:55]             // in0 && in1
v_mul_lo_u32 v9, v9, s[sgprStrideD1J]              // coord1 element offset =  coord1 * StrideD
_v_add_lshl_u32 v9, v9, v10, 0x2                   // scale to BPE
v_cndmask_b32 v9, -1, v9, s[54:55]                 // clip if OOB. offset
_buffer_store_b128 v[12:15], v9, s[sgprSrdD:sgprSrdD+3], 0, offen, offset:0 // store D
s_waitcnt lgkmcnt(2)                               // wait for LDS read
_v_add_u32 v11, v5, 2                              // coord1 += nColPerLoad
_v_add_u32 v10, v4, 0                              // coord0 += element index of load vector
_v_add_u32 v9, v6, 2                               // offset coord1 += nColPerLoad
v_cmp_lt_u32 s[52:53], v10, s[sgprSizeI]           // coord0 < size0
v_cmp_lt_u32 s[54:55], v11, s[sgprSizeJ]           // coord1 < size1
s_and_b64 s[54:55], s[52:53], s[54:55]             // in0 && in1
v_mul_lo_u32 v9, v9, s[sgprStrideD1J]              // coord1 element offset =  coord1 * StrideD
_v_add_lshl_u32 v9, v9, v10, 0x2                   // scale to BPE
v_cndmask_b32 v9, -1, v9, s[54:55]                 // clip if OOB. offset
_buffer_store_b128 v[16:19], v9, s[sgprSrdD:sgprSrdD+3], 0, offen, offset:0 // store D
	;; [unrolled: 11-line block ×4, first 2 shown]

s_barrier //wait all lds read finished
s_nop 0                                            // 1 wait state required when next inst writes vgprs held by previous dwordx4 store inst
/* optSingleColVgpr=0 optSharedColVgpr=0 optSGPRUsage=BufferLoad_Edge_Mask optSrdIncForRow=1 */

/******************************************/
/* Global Write Alpha Beta Edge Batch #2 (d1,d0,vc1,vc0) = */
/*    (2,0,0,0:vw4); (2,1,0,0:vw4); (2,2,0,0:vw4); (2,3,0,0:vw4) */
/******************************************/

/* calc coords, apply mask, and issue loads (if necessary) */
/* (d1,vc1,d0,vc0)=(2,0,0,0) */
_v_add_co_u32 v1, vcc, v1, 32                      // coord1.1: coord1Vgpr += d1*sg1*VW + vc1
v_cmp_lt_u32 s[52:53], v0, s[sgprSizeI]            // coord0 < size0
v_cmp_lt_u32 s[56:57], v1, s[sgprSizeJ]            // coord1 < size1
s_and_b64 s[56:57], s[52:53], s[56:57]             // in0 && in1
_v_add_lshl_u32 v9, v2, v0, 0x2                    // scaleToBpe: accumulate d0 lower and *= bpe into Cin addr
v_cndmask_b32 v9, -1, v9, s[56:57]                 // LDC clip if OOB. offset
s_mul_i32 s52, s[sgprStrideC1J], 128               // scale StrideC *= numRows(32) * bpe
s_add_u32  s[sgprSrdC+0], s[sgprSrdC+0], s52       // incToNextRow: gra SRD += inc(lower)
s_addc_u32  s[sgprSrdC+1], s[sgprSrdC+1], 0        // incToNextRow: gra SRD += inc(upper)
_buffer_load_b128 v[12:15], v9, s[sgprSrdC:sgprSrdC+3], 0, offen offset:0 // load C for beta calc
_v_add_lshl_u32 v9, v3, v0, 0x2                    // scaleToBpe: accumulate d0 lower and *= bpe into Cin addr
v_cndmask_b32 v9, -1, v9, s[56:57]                 // LDD clip if OOB. offset
/* (d1,vc1,d0,vc0)=(2,0,1,0) */
_v_add_co_u32 v10, vcc, v0, 8                      // coord0.1: coord0 += d0*sg0*VW + vc0
v_cmp_lt_u32 s[52:53], v10, s[sgprSizeI]           // coord0 < size0
v_cmp_lt_u32 s[56:57], v1, s[sgprSizeJ]            // coord1 < size1
s_and_b64 s[56:57], s[52:53], s[56:57]             // in0 && in1
_v_add_lshl_u32 v20, v2, v10, 0x2                  // scaleToBpe: accumulate d0 lower and *= bpe into Cin addr
v_cndmask_b32 v20, -1, v20, s[56:57]               // LDC clip if OOB. offset
_buffer_load_b128 v[24:27], v20, s[sgprSrdC:sgprSrdC+3], 0, offen offset:0 // load C for beta calc
_v_add_lshl_u32 v20, v3, v10, 0x2                  // scaleToBpe: accumulate d0 lower and *= bpe into Cin addr
v_cndmask_b32 v20, -1, v20, s[56:57]               // LDD clip if OOB. offset
/* (d1,vc1,d0,vc0)=(2,0,2,0) */
_v_add_co_u32 v10, vcc, v0, 16                     // coord0.1: coord0 += d0*sg0*VW + vc0
v_cmp_lt_u32 s[52:53], v10, s[sgprSizeI]           // coord0 < size0
v_cmp_lt_u32 s[56:57], v1, s[sgprSizeJ]            // coord1 < size1
s_and_b64 s[56:57], s[52:53], s[56:57]             // in0 && in1
_v_add_lshl_u32 v21, v2, v10, 0x2                  // scaleToBpe: accumulate d0 lower and *= bpe into Cin addr
v_cndmask_b32 v21, -1, v21, s[56:57]               // LDC clip if OOB. offset
_buffer_load_b128 v[32:35], v21, s[sgprSrdC:sgprSrdC+3], 0, offen offset:0 // load C for beta calc
_v_add_lshl_u32 v21, v3, v10, 0x2                  // scaleToBpe: accumulate d0 lower and *= bpe into Cin addr
v_cndmask_b32 v21, -1, v21, s[56:57]               // LDD clip if OOB. offset
/* (d1,vc1,d0,vc0)=(2,0,3,0) */
_v_add_co_u32 v10, vcc, v0, 24                     // coord0.1: coord0 += d0*sg0*VW + vc0
v_cmp_lt_u32 s[52:53], v10, s[sgprSizeI]           // coord0 < size0
v_cmp_lt_u32 s[56:57], v1, s[sgprSizeJ]            // coord1 < size1
s_and_b64 s[56:57], s[52:53], s[56:57]             // in0 && in1
_v_add_lshl_u32 v22, v2, v10, 0x2                  // scaleToBpe: accumulate d0 lower and *= bpe into Cin addr
v_cndmask_b32 v22, -1, v22, s[56:57]               // LDC clip if OOB. offset
_buffer_load_b128 v[40:43], v22, s[sgprSrdC:sgprSrdC+3], 0, offen offset:0 // load C for beta calc
_v_add_lshl_u32 v22, v3, v10, 0x2                  // scaleToBpe: accumulate d0 lower and *= bpe into Cin addr
v_cndmask_b32 v22, -1, v22, s[56:57]               // LDD clip if OOB. offset
v_accvgpr_read_b32 v[vgprValuC+16], acc32 // copy acc to vreg[32]
v_accvgpr_read_b32 v[vgprValuC+17], acc33 // copy acc to vreg[33]
v_accvgpr_read_b32 v[vgprValuC+18], acc34 // copy acc to vreg[34]
v_accvgpr_read_b32 v[vgprValuC+19], acc35 // copy acc to vreg[35]
v_accvgpr_read_b32 v[vgprValuC+28], acc36 // copy acc to vreg[36]
v_accvgpr_read_b32 v[vgprValuC+29], acc37 // copy acc to vreg[37]
v_accvgpr_read_b32 v[vgprValuC+30], acc38 // copy acc to vreg[38]
v_accvgpr_read_b32 v[vgprValuC+31], acc39 // copy acc to vreg[39]
v_accvgpr_read_b32 v[vgprValuC+36], acc40 // copy acc to vreg[40]
v_accvgpr_read_b32 v[vgprValuC+37], acc41 // copy acc to vreg[41]
v_accvgpr_read_b32 v[vgprValuC+38], acc42 // copy acc to vreg[42]
v_accvgpr_read_b32 v[vgprValuC+39], acc43 // copy acc to vreg[43]
v_accvgpr_read_b32 v[vgprValuC+44], acc44 // copy acc to vreg[44]
v_accvgpr_read_b32 v[vgprValuC+45], acc45 // copy acc to vreg[45]
v_accvgpr_read_b32 v[vgprValuC+46], acc46 // copy acc to vreg[46]
v_accvgpr_read_b32 v[vgprValuC+47], acc47 // copy acc to vreg[47]
s_nop 1                                            // 2 wait states required before reading vgpr

/* rC *= alpha batchElements=[(2, 0, 0, 0), (2, 1, 0, 0), (2, 2, 0, 0), (2, 3, 0, 0)] */
v_mul_lo_u32 v[vgprValuC+16], s[sgprAlpha], v[vgprValuC+16] // *= alpha
v_mul_lo_u32 v[vgprValuC+17], s[sgprAlpha], v[vgprValuC+17] // *= alpha
v_mul_lo_u32 v[vgprValuC+18], s[sgprAlpha], v[vgprValuC+18] // *= alpha
v_mul_lo_u32 v[vgprValuC+19], s[sgprAlpha], v[vgprValuC+19] // *= alpha
v_mul_lo_u32 v[vgprValuC+28], s[sgprAlpha], v[vgprValuC+28] // *= alpha
v_mul_lo_u32 v[vgprValuC+29], s[sgprAlpha], v[vgprValuC+29] // *= alpha
v_mul_lo_u32 v[vgprValuC+30], s[sgprAlpha], v[vgprValuC+30] // *= alpha
v_mul_lo_u32 v[vgprValuC+31], s[sgprAlpha], v[vgprValuC+31] // *= alpha
v_mul_lo_u32 v[vgprValuC+36], s[sgprAlpha], v[vgprValuC+36] // *= alpha
v_mul_lo_u32 v[vgprValuC+37], s[sgprAlpha], v[vgprValuC+37] // *= alpha
v_mul_lo_u32 v[vgprValuC+38], s[sgprAlpha], v[vgprValuC+38] // *= alpha
v_mul_lo_u32 v[vgprValuC+39], s[sgprAlpha], v[vgprValuC+39] // *= alpha
v_mul_lo_u32 v[vgprValuC+44], s[sgprAlpha], v[vgprValuC+44] // *= alpha
v_mul_lo_u32 v[vgprValuC+45], s[sgprAlpha], v[vgprValuC+45] // *= alpha
v_mul_lo_u32 v[vgprValuC+46], s[sgprAlpha], v[vgprValuC+46] // *= alpha
v_mul_lo_u32 v[vgprValuC+47], s[sgprAlpha], v[vgprValuC+47] // *= alpha
s_waitcnt vmcnt(0)                                 // wait C

/* apply mask, calc new C and issue writes */

/* StoreRemap: shift coord1 address */
s_mul_i32 s52, s[sgprStrideD1J], 128               // scale StrideD *= numRows(32) * bpe
s_add_u32  s[sgprSrdD+0], s[sgprSrdD+0], s52       // incToNextRow: gra SRD += inc(lower)
s_addc_u32  s[sgprSrdD+1], s[sgprSrdD+1], 0        // incToNextRow: gra SRD += inc(upper)
v_mov_b32 v10, 32                                  // set shift rows
_v_add_u32 v5, v5, v10                             // shift storeRemap coord1
v_mul_lo_u32 v12, s[sgprBeta], v12                 // C = C*beta
_v_add_u32 v[vgprValuC+16], v12, v[vgprValuC+16]   // finalSum = sum*alpha + C*beta
v_mul_lo_u32 v13, s[sgprBeta], v13                 // C = C*beta
_v_add_u32 v[vgprValuC+17], v13, v[vgprValuC+17]   // finalSum = sum*alpha + C*beta
	;; [unrolled: 2-line block ×4, first 2 shown]
_ds_store_b128 v7, v[16:19], offset:0              // storeRemap lw
v_mul_lo_u32 v24, s[sgprBeta], v24                 // C = C*beta
_v_add_u32 v[vgprValuC+28], v24, v[vgprValuC+28]   // finalSum = sum*alpha + C*beta
v_mul_lo_u32 v25, s[sgprBeta], v25                 // C = C*beta
_v_add_u32 v[vgprValuC+29], v25, v[vgprValuC+29]   // finalSum = sum*alpha + C*beta
v_mul_lo_u32 v26, s[sgprBeta], v26                 // C = C*beta
_v_add_u32 v[vgprValuC+30], v26, v[vgprValuC+30]   // finalSum = sum*alpha + C*beta
v_mul_lo_u32 v27, s[sgprBeta], v27                 // C = C*beta
_v_add_u32 v[vgprValuC+31], v27, v[vgprValuC+31]   // finalSum = sum*alpha + C*beta
_ds_store_b128 v7, v[28:31], offset:32             // storeRemap lw
v_mul_lo_u32 v32, s[sgprBeta], v32                 // C = C*beta
_v_add_u32 v[vgprValuC+36], v32, v[vgprValuC+36]   // finalSum = sum*alpha + C*beta
v_mul_lo_u32 v33, s[sgprBeta], v33                 // C = C*beta
_v_add_u32 v[vgprValuC+37], v33, v[vgprValuC+37]   // finalSum = sum*alpha + C*beta
v_mul_lo_u32 v34, s[sgprBeta], v34                 // C = C*beta
_v_add_u32 v[vgprValuC+38], v34, v[vgprValuC+38]   // finalSum = sum*alpha + C*beta
v_mul_lo_u32 v35, s[sgprBeta], v35                 // C = C*beta
_v_add_u32 v[vgprValuC+39], v35, v[vgprValuC+39]   // finalSum = sum*alpha + C*beta
_ds_store_b128 v7, v[36:39], offset:64             // storeRemap lw
	;; [unrolled: 9-line block ×3, first 2 shown]

/* Handle local read and global write */
s_waitcnt lgkmcnt(0)                               // wait for LDS write
s_barrier //wait all lds write finished

_ds_load_b128 v[12:15], v8, offset:0               // storeRemap lr
_ds_load_b128 v[16:19], v8, offset:1056            // storeRemap lr
_ds_load_b128 v[20:23], v8, offset:2112            // storeRemap lr
	;; [unrolled: 1-line block ×3, first 2 shown]

s_waitcnt lgkmcnt(3)                               // wait for LDS read
_v_add_u32 v11, v5, 0                              // coord1 += nColPerLoad
_v_add_u32 v10, v4, 0                              // coord0 += element index of load vector
_v_add_u32 v9, v6, 0                               // offset coord1 += nColPerLoad
v_cmp_lt_u32 s[52:53], v10, s[sgprSizeI]           // coord0 < size0
v_cmp_lt_u32 s[54:55], v11, s[sgprSizeJ]           // coord1 < size1
s_and_b64 s[54:55], s[52:53], s[54:55]             // in0 && in1
v_mul_lo_u32 v9, v9, s[sgprStrideD1J]              // coord1 element offset =  coord1 * StrideD
_v_add_lshl_u32 v9, v9, v10, 0x2                   // scale to BPE
v_cndmask_b32 v9, -1, v9, s[54:55]                 // clip if OOB. offset
_buffer_store_b128 v[12:15], v9, s[sgprSrdD:sgprSrdD+3], 0, offen, offset:0 // store D
s_waitcnt lgkmcnt(2)                               // wait for LDS read
_v_add_u32 v11, v5, 2                              // coord1 += nColPerLoad
_v_add_u32 v10, v4, 0                              // coord0 += element index of load vector
_v_add_u32 v9, v6, 2                               // offset coord1 += nColPerLoad
v_cmp_lt_u32 s[52:53], v10, s[sgprSizeI]           // coord0 < size0
v_cmp_lt_u32 s[54:55], v11, s[sgprSizeJ]           // coord1 < size1
s_and_b64 s[54:55], s[52:53], s[54:55]             // in0 && in1
v_mul_lo_u32 v9, v9, s[sgprStrideD1J]              // coord1 element offset =  coord1 * StrideD
_v_add_lshl_u32 v9, v9, v10, 0x2                   // scale to BPE
v_cndmask_b32 v9, -1, v9, s[54:55]                 // clip if OOB. offset
_buffer_store_b128 v[16:19], v9, s[sgprSrdD:sgprSrdD+3], 0, offen, offset:0 // store D
	;; [unrolled: 11-line block ×4, first 2 shown]

s_barrier //wait all lds read finished
s_nop 0                                            // 1 wait state required when next inst writes vgprs held by previous dwordx4 store inst
s_branch label_GW_End_99                           // jump to end
label_GW_End_99:

label_0104:  /// KernelEnd
s_endpgm                                           // Kernel End

